;; amdgpu-corpus repo=ROCm/rocSPARSE kind=compiled arch=gfx90a opt=O3
	.text
	.amdgcn_target "amdgcn-amd-amdhsa--gfx90a"
	.amdhsa_code_object_version 6
	.section	.text._ZN9rocsparseL29csrgemm_intermediate_productsILj256ELj8EiiEEvT2_PKT1_PKS1_S4_S4_PS2_21rocsparse_index_base_bb,"axG",@progbits,_ZN9rocsparseL29csrgemm_intermediate_productsILj256ELj8EiiEEvT2_PKT1_PKS1_S4_S4_PS2_21rocsparse_index_base_bb,comdat
	.globl	_ZN9rocsparseL29csrgemm_intermediate_productsILj256ELj8EiiEEvT2_PKT1_PKS1_S4_S4_PS2_21rocsparse_index_base_bb ; -- Begin function _ZN9rocsparseL29csrgemm_intermediate_productsILj256ELj8EiiEEvT2_PKT1_PKS1_S4_S4_PS2_21rocsparse_index_base_bb
	.p2align	8
	.type	_ZN9rocsparseL29csrgemm_intermediate_productsILj256ELj8EiiEEvT2_PKT1_PKS1_S4_S4_PS2_21rocsparse_index_base_bb,@function
_ZN9rocsparseL29csrgemm_intermediate_productsILj256ELj8EiiEEvT2_PKT1_PKS1_S4_S4_PS2_21rocsparse_index_base_bb: ; @_ZN9rocsparseL29csrgemm_intermediate_productsILj256ELj8EiiEEvT2_PKT1_PKS1_S4_S4_PS2_21rocsparse_index_base_bb
; %bb.0:
	s_load_dword s0, s[4:5], 0x0
	v_lshl_or_b32 v1, s6, 8, v0
	v_lshrrev_b32_e32 v1, 3, v1
	s_waitcnt lgkmcnt(0)
	v_cmp_gt_i32_e32 vcc, s0, v1
	s_and_saveexec_b64 s[0:1], vcc
	s_cbranch_execz .LBB0_19
; %bb.1:
	s_load_dwordx2 s[2:3], s[4:5], 0x30
	s_load_dwordx4 s[8:11], s[4:5], 0x20
	v_and_b32_e32 v5, 7, v0
	v_mov_b32_e32 v0, 0
	v_lshlrev_b32_e32 v4, 2, v1
	s_waitcnt lgkmcnt(0)
	s_bitcmp0_b32 s3, 0
	s_cbranch_scc1 .LBB0_15
; %bb.2:
	s_load_dwordx2 s[0:1], s[4:5], 0x8
	v_subrev_u32_e32 v0, s2, v5
	s_waitcnt lgkmcnt(0)
	global_load_dwordx2 v[2:3], v4, s[0:1]
	s_waitcnt vmcnt(0)
	v_subrev_u32_e32 v6, s2, v3
	v_add_u32_e32 v0, v0, v2
	v_cmp_lt_i32_e32 vcc, v0, v6
	v_mov_b32_e32 v3, 0
	s_and_saveexec_b64 s[6:7], vcc
	s_cbranch_execz .LBB0_14
; %bb.3:
	v_add_u32_e32 v1, v2, v5
	v_subrev_u32_e32 v1, s2, v1
	v_add_u32_e32 v1, 8, v1
	s_load_dwordx4 s[12:15], s[4:5], 0x10
	v_max_i32_e32 v1, v1, v6
	v_not_b32_e32 v2, v2
	v_add3_u32 v1, v1, s2, v2
	v_sub_u32_e32 v1, v1, v5
	s_movk_i32 s0, 0x98
	v_cmp_gt_u32_e32 vcc, s0, v1
	s_movk_i32 s0, 0x97
	v_cmp_lt_u32_e64 s[0:1], s0, v1
	v_mov_b32_e32 v3, 0
	s_and_saveexec_b64 s[16:17], s[0:1]
	s_cbranch_execz .LBB0_9
; %bb.4:
	v_and_b32_e32 v2, -8, v1
	v_add_u32_e32 v2, v0, v2
	v_cmp_ge_i32_e64 s[0:1], v2, v0
	s_mov_b64 s[20:21], -1
	v_mov_b32_e32 v3, 0
	s_and_saveexec_b64 s[18:19], s[0:1]
	s_cbranch_execz .LBB0_8
; %bb.5:
	v_lshrrev_b32_e32 v1, 3, v1
	v_add_u32_e32 v7, 1, v1
	v_and_b32_e32 v8, 0x3ffffffe, v7
	v_add_u32_e32 v1, 8, v0
	s_mov_b32 s3, s2
	s_mov_b64 s[20:21], 0
	v_mov_b32_e32 v9, 0
	s_waitcnt lgkmcnt(0)
	v_mov_b32_e32 v10, s13
	v_mov_b32_e32 v11, s15
	;; [unrolled: 1-line block ×3, first 2 shown]
	v_pk_mov_b32 v[2:3], v[0:1], v[0:1] op_sel:[0,1]
	v_mov_b32_e32 v1, 0
.LBB0_6:                                ; =>This Inner Loop Header: Depth=1
	v_ashrrev_i32_e32 v17, 31, v2
	v_mov_b32_e32 v16, v2
	v_lshlrev_b64 v[16:17], 2, v[16:17]
	v_ashrrev_i32_e32 v15, 31, v3
	v_mov_b32_e32 v14, v3
	v_add_co_u32_e64 v16, s[0:1], s12, v16
	v_lshlrev_b64 v[14:15], 2, v[14:15]
	v_addc_co_u32_e64 v17, s[0:1], v10, v17, s[0:1]
	v_add_co_u32_e64 v14, s[0:1], s12, v14
	v_addc_co_u32_e64 v15, s[0:1], v10, v15, s[0:1]
	global_load_dword v13, v[16:17], off
	global_load_dword v18, v[14:15], off
	v_add_u32_e32 v12, -2, v12
	v_add_u32_e32 v3, 16, v3
	v_add_u32_e32 v2, 16, v2
	s_waitcnt vmcnt(1)
	v_subrev_u32_e32 v14, s2, v13
	v_ashrrev_i32_e32 v15, 31, v14
	s_waitcnt vmcnt(0)
	v_subrev_u32_e32 v16, s3, v18
	v_lshlrev_b64 v[14:15], 2, v[14:15]
	v_ashrrev_i32_e32 v17, 31, v16
	v_add_co_u32_e64 v14, s[0:1], s14, v14
	v_lshlrev_b64 v[16:17], 2, v[16:17]
	v_addc_co_u32_e64 v15, s[0:1], v11, v15, s[0:1]
	v_add_co_u32_e64 v16, s[0:1], s14, v16
	v_addc_co_u32_e64 v17, s[0:1], v11, v17, s[0:1]
	global_load_dwordx2 v[18:19], v[14:15], off
	global_load_dwordx2 v[20:21], v[16:17], off
	v_cmp_eq_u32_e64 s[0:1], 0, v12
	s_or_b64 s[20:21], s[0:1], s[20:21]
	s_waitcnt vmcnt(1)
	v_add_u32_e32 v9, v19, v9
	s_waitcnt vmcnt(0)
	v_add_u32_e32 v1, v21, v1
	v_sub_u32_e32 v1, v1, v20
	v_sub_u32_e32 v9, v9, v18
	s_andn2_b64 exec, exec, s[20:21]
	s_cbranch_execnz .LBB0_6
; %bb.7:
	s_or_b64 exec, exec, s[20:21]
	v_cmp_ne_u32_e64 s[0:1], v7, v8
	v_lshl_add_u32 v0, v8, 3, v0
	v_add_u32_e32 v3, v9, v1
	s_orn2_b64 s[20:21], s[0:1], exec
.LBB0_8:
	s_or_b64 exec, exec, s[18:19]
	s_andn2_b64 s[0:1], vcc, exec
	s_and_b64 s[18:19], s[20:21], exec
	s_or_b64 vcc, s[0:1], s[18:19]
.LBB0_9:
	s_or_b64 exec, exec, s[16:17]
	s_and_saveexec_b64 s[0:1], vcc
	s_cbranch_execz .LBB0_13
; %bb.10:
	s_mov_b64 s[16:17], 0
	s_waitcnt lgkmcnt(0)
	v_mov_b32_e32 v2, s13
	v_mov_b32_e32 v7, s15
.LBB0_11:                               ; =>This Inner Loop Header: Depth=1
	v_ashrrev_i32_e32 v1, 31, v0
	v_lshlrev_b64 v[8:9], 2, v[0:1]
	v_add_co_u32_e32 v8, vcc, s12, v8
	v_addc_co_u32_e32 v9, vcc, v2, v9, vcc
	global_load_dword v1, v[8:9], off
	v_add_u32_e32 v0, 8, v0
	s_waitcnt vmcnt(0)
	v_subrev_u32_e32 v8, s2, v1
	v_ashrrev_i32_e32 v9, 31, v8
	v_lshlrev_b64 v[8:9], 2, v[8:9]
	v_add_co_u32_e32 v8, vcc, s14, v8
	v_addc_co_u32_e32 v9, vcc, v7, v9, vcc
	global_load_dwordx2 v[8:9], v[8:9], off
	v_cmp_ge_i32_e32 vcc, v0, v6
	s_or_b64 s[16:17], vcc, s[16:17]
	s_waitcnt vmcnt(0)
	v_add_u32_e32 v1, v9, v3
	v_sub_u32_e32 v3, v1, v8
	s_andn2_b64 exec, exec, s[16:17]
	s_cbranch_execnz .LBB0_11
; %bb.12:
	s_or_b64 exec, exec, s[16:17]
.LBB0_13:
	s_or_b64 exec, exec, s[0:1]
.LBB0_14:
	s_or_b64 exec, exec, s[6:7]
	v_mov_b32_dpp v0, v3 row_shr:1 row_mask:0xf bank_mask:0xf
	v_add_u32_e32 v0, v0, v3
	s_nop 1
	v_mov_b32_dpp v1, v0 row_shr:2 row_mask:0xf bank_mask:0xf
	v_add_u32_e32 v0, v0, v1
	s_nop 1
	v_mov_b32_dpp v1, v0 row_shr:4 row_mask:0xf bank_mask:0xe
	v_add_u32_e32 v0, v0, v1
.LBB0_15:
	v_cmp_eq_u32_e32 vcc, 7, v5
	s_and_b64 exec, exec, vcc
	s_cbranch_execz .LBB0_19
; %bb.16:
	s_load_dword s0, s[4:5], 0x34
	s_waitcnt lgkmcnt(0)
	s_bfe_u32 s0, s0, 0x10008
	s_cmp_eq_u32 s0, 0
	s_cbranch_scc1 .LBB0_18
; %bb.17:
	global_load_dwordx2 v[2:3], v4, s[8:9]
	s_waitcnt vmcnt(0)
	v_add_u32_e32 v0, v3, v0
	v_sub_u32_e32 v0, v0, v2
.LBB0_18:
	global_store_dword v4, v0, s[10:11]
.LBB0_19:
	s_endpgm
	.section	.rodata,"a",@progbits
	.p2align	6, 0x0
	.amdhsa_kernel _ZN9rocsparseL29csrgemm_intermediate_productsILj256ELj8EiiEEvT2_PKT1_PKS1_S4_S4_PS2_21rocsparse_index_base_bb
		.amdhsa_group_segment_fixed_size 0
		.amdhsa_private_segment_fixed_size 0
		.amdhsa_kernarg_size 56
		.amdhsa_user_sgpr_count 6
		.amdhsa_user_sgpr_private_segment_buffer 1
		.amdhsa_user_sgpr_dispatch_ptr 0
		.amdhsa_user_sgpr_queue_ptr 0
		.amdhsa_user_sgpr_kernarg_segment_ptr 1
		.amdhsa_user_sgpr_dispatch_id 0
		.amdhsa_user_sgpr_flat_scratch_init 0
		.amdhsa_user_sgpr_kernarg_preload_length 0
		.amdhsa_user_sgpr_kernarg_preload_offset 0
		.amdhsa_user_sgpr_private_segment_size 0
		.amdhsa_uses_dynamic_stack 0
		.amdhsa_system_sgpr_private_segment_wavefront_offset 0
		.amdhsa_system_sgpr_workgroup_id_x 1
		.amdhsa_system_sgpr_workgroup_id_y 0
		.amdhsa_system_sgpr_workgroup_id_z 0
		.amdhsa_system_sgpr_workgroup_info 0
		.amdhsa_system_vgpr_workitem_id 0
		.amdhsa_next_free_vgpr 22
		.amdhsa_next_free_sgpr 22
		.amdhsa_accum_offset 24
		.amdhsa_reserve_vcc 1
		.amdhsa_reserve_flat_scratch 0
		.amdhsa_float_round_mode_32 0
		.amdhsa_float_round_mode_16_64 0
		.amdhsa_float_denorm_mode_32 3
		.amdhsa_float_denorm_mode_16_64 3
		.amdhsa_dx10_clamp 1
		.amdhsa_ieee_mode 1
		.amdhsa_fp16_overflow 0
		.amdhsa_tg_split 0
		.amdhsa_exception_fp_ieee_invalid_op 0
		.amdhsa_exception_fp_denorm_src 0
		.amdhsa_exception_fp_ieee_div_zero 0
		.amdhsa_exception_fp_ieee_overflow 0
		.amdhsa_exception_fp_ieee_underflow 0
		.amdhsa_exception_fp_ieee_inexact 0
		.amdhsa_exception_int_div_zero 0
	.end_amdhsa_kernel
	.section	.text._ZN9rocsparseL29csrgemm_intermediate_productsILj256ELj8EiiEEvT2_PKT1_PKS1_S4_S4_PS2_21rocsparse_index_base_bb,"axG",@progbits,_ZN9rocsparseL29csrgemm_intermediate_productsILj256ELj8EiiEEvT2_PKT1_PKS1_S4_S4_PS2_21rocsparse_index_base_bb,comdat
.Lfunc_end0:
	.size	_ZN9rocsparseL29csrgemm_intermediate_productsILj256ELj8EiiEEvT2_PKT1_PKS1_S4_S4_PS2_21rocsparse_index_base_bb, .Lfunc_end0-_ZN9rocsparseL29csrgemm_intermediate_productsILj256ELj8EiiEEvT2_PKT1_PKS1_S4_S4_PS2_21rocsparse_index_base_bb
                                        ; -- End function
	.section	.AMDGPU.csdata,"",@progbits
; Kernel info:
; codeLenInByte = 812
; NumSgprs: 26
; NumVgprs: 22
; NumAgprs: 0
; TotalNumVgprs: 22
; ScratchSize: 0
; MemoryBound: 0
; FloatMode: 240
; IeeeMode: 1
; LDSByteSize: 0 bytes/workgroup (compile time only)
; SGPRBlocks: 3
; VGPRBlocks: 2
; NumSGPRsForWavesPerEU: 26
; NumVGPRsForWavesPerEU: 22
; AccumOffset: 24
; Occupancy: 8
; WaveLimiterHint : 1
; COMPUTE_PGM_RSRC2:SCRATCH_EN: 0
; COMPUTE_PGM_RSRC2:USER_SGPR: 6
; COMPUTE_PGM_RSRC2:TRAP_HANDLER: 0
; COMPUTE_PGM_RSRC2:TGID_X_EN: 1
; COMPUTE_PGM_RSRC2:TGID_Y_EN: 0
; COMPUTE_PGM_RSRC2:TGID_Z_EN: 0
; COMPUTE_PGM_RSRC2:TIDIG_COMP_CNT: 0
; COMPUTE_PGM_RSRC3_GFX90A:ACCUM_OFFSET: 5
; COMPUTE_PGM_RSRC3_GFX90A:TG_SPLIT: 0
	.section	.text._ZN9rocsparseL26csrgemm_group_reduce_part1ILj256ELj11EiiEEvT2_PT1_PS1_j,"axG",@progbits,_ZN9rocsparseL26csrgemm_group_reduce_part1ILj256ELj11EiiEEvT2_PT1_PS1_j,comdat
	.globl	_ZN9rocsparseL26csrgemm_group_reduce_part1ILj256ELj11EiiEEvT2_PT1_PS1_j ; -- Begin function _ZN9rocsparseL26csrgemm_group_reduce_part1ILj256ELj11EiiEEvT2_PT1_PS1_j
	.p2align	8
	.type	_ZN9rocsparseL26csrgemm_group_reduce_part1ILj256ELj11EiiEEvT2_PT1_PS1_j,@function
_ZN9rocsparseL26csrgemm_group_reduce_part1ILj256ELj11EiiEEvT2_PT1_PS1_j: ; @_ZN9rocsparseL26csrgemm_group_reduce_part1ILj256ELj11EiiEEvT2_PT1_PS1_j
; %bb.0:
	s_load_dword s7, s[4:5], 0x0
	s_load_dwordx2 s[0:1], s[4:5], 0x10
	v_mul_u32_u24_e32 v1, 11, v0
	v_lshlrev_b32_e32 v1, 2, v1
	v_mov_b32_e32 v2, 0
	ds_write2_b32 v1, v2, v2 offset1:1
	ds_write2_b32 v1, v2, v2 offset0:2 offset1:3
	ds_write2_b32 v1, v2, v2 offset0:4 offset1:5
	;; [unrolled: 1-line block ×4, first 2 shown]
	ds_write_b32 v1, v2 offset:40
	v_lshl_or_b32 v2, s6, 8, v0
	s_waitcnt lgkmcnt(0)
	v_cmp_gt_i32_e32 vcc, s7, v2
	s_and_saveexec_b64 s[2:3], vcc
	s_cbranch_execz .LBB1_21
; %bb.1:
	s_load_dwordx2 s[8:9], s[4:5], 0x8
	s_load_dword s12, s[4:5], 0x18
	s_load_dword s14, s[4:5], 0x20
	v_add_u32_e32 v6, 8, v1
	v_add_u32_e32 v7, 16, v1
	;; [unrolled: 1-line block ×3, first 2 shown]
	s_waitcnt lgkmcnt(0)
	s_cmp_lt_u32 s12, 0x10000
	s_cselect_b64 s[4:5], -1, 0
	s_cmp_lt_u32 s12, 0x20000
	s_cselect_b64 s[10:11], -1, 0
	s_cmp_lt_u32 s12, 0x40000
	v_add_u32_e32 v9, 32, v1
	v_add_u32_e32 v10, 40, v1
	;; [unrolled: 1-line block ×7, first 2 shown]
	s_mov_b32 s33, 0x10000
	s_cselect_b64 s[12:13], -1, 0
	s_lshl_b32 s36, s14, 8
	s_mov_b64 s[14:15], 0
	v_mov_b32_e32 v16, s9
	s_movk_i32 s9, 0x200
	s_movk_i32 s37, 0x400
	;; [unrolled: 1-line block ×6, first 2 shown]
	s_mov_b32 s42, 0x8000
	s_branch .LBB1_11
.LBB1_2:                                ;   in Loop: Header=BB1_11 Depth=1
	s_or_b64 exec, exec, s[34:35]
.LBB1_3:                                ;   in Loop: Header=BB1_11 Depth=1
	s_or_b64 exec, exec, s[30:31]
.LBB1_4:                                ;   in Loop: Header=BB1_11 Depth=1
	s_or_b64 exec, exec, s[28:29]
.LBB1_5:                                ;   in Loop: Header=BB1_11 Depth=1
	s_or_b64 exec, exec, s[26:27]
.LBB1_6:                                ;   in Loop: Header=BB1_11 Depth=1
	s_or_b64 exec, exec, s[24:25]
.LBB1_7:                                ;   in Loop: Header=BB1_11 Depth=1
	s_or_b64 exec, exec, s[22:23]
.LBB1_8:                                ;   in Loop: Header=BB1_11 Depth=1
	s_or_b64 exec, exec, s[20:21]
.LBB1_9:                                ;   in Loop: Header=BB1_11 Depth=1
	s_or_b64 exec, exec, s[18:19]
.LBB1_10:                               ;   in Loop: Header=BB1_11 Depth=1
	s_or_b64 exec, exec, s[16:17]
	ds_read_b32 v18, v17
	v_add_u32_e32 v2, s36, v2
	v_cmp_le_i32_e32 vcc, s7, v2
	s_or_b64 s[14:15], vcc, s[14:15]
	global_store_dword v[4:5], v3, off
	s_waitcnt lgkmcnt(0)
	v_add_u32_e32 v18, 1, v18
	ds_write_b32 v17, v18
	s_andn2_b64 exec, exec, s[14:15]
	s_cbranch_execz .LBB1_21
.LBB1_11:                               ; =>This Inner Loop Header: Depth=1
	v_ashrrev_i32_e32 v3, 31, v2
	v_lshlrev_b64 v[4:5], 2, v[2:3]
	v_add_co_u32_e32 v4, vcc, s8, v4
	v_addc_co_u32_e32 v5, vcc, v16, v5, vcc
	global_load_dword v18, v[4:5], off
	v_mov_b32_e32 v3, 0
	v_mov_b32_e32 v17, v1
	s_waitcnt vmcnt(0)
	v_cmp_lt_i32_e32 vcc, 32, v18
	s_and_saveexec_b64 s[16:17], vcc
	s_cbranch_execz .LBB1_10
; %bb.12:                               ;   in Loop: Header=BB1_11 Depth=1
	v_cmp_lt_u32_e32 vcc, 64, v18
	v_mov_b32_e32 v3, 1
	v_mov_b32_e32 v17, v11
	s_and_saveexec_b64 s[18:19], vcc
	s_cbranch_execz .LBB1_9
; %bb.13:                               ;   in Loop: Header=BB1_11 Depth=1
	v_cmp_lt_u32_e32 vcc, s9, v18
	v_mov_b32_e32 v3, 2
	v_mov_b32_e32 v17, v6
	;; [unrolled: 6-line block ×6, first 2 shown]
	s_and_saveexec_b64 s[28:29], vcc
	s_cbranch_execz .LBB1_4
; %bb.18:                               ;   in Loop: Header=BB1_11 Depth=1
	v_cmp_lt_u32_e32 vcc, s41, v18
	s_or_b64 s[34:35], s[4:5], vcc
	v_mov_b32_e32 v3, 7
	v_mov_b32_e32 v17, v14
	s_and_saveexec_b64 s[30:31], s[34:35]
	s_cbranch_execz .LBB1_3
; %bb.19:                               ;   in Loop: Header=BB1_11 Depth=1
	v_cmp_lt_u32_e32 vcc, s42, v18
	s_or_b64 s[44:45], s[10:11], vcc
	v_mov_b32_e32 v3, 8
	v_mov_b32_e32 v17, v9
	s_and_saveexec_b64 s[34:35], s[44:45]
	s_cbranch_execz .LBB1_2
; %bb.20:                               ;   in Loop: Header=BB1_11 Depth=1
	v_cmp_lt_u32_e32 vcc, s33, v18
	s_or_b64 vcc, s[12:13], vcc
	v_cndmask_b32_e32 v17, v15, v10, vcc
	v_cndmask_b32_e64 v3, 9, 10, vcc
	s_branch .LBB1_2
.LBB1_21:
	s_or_b64 exec, exec, s[2:3]
	s_movk_i32 s2, 0x80
	v_cmp_gt_u32_e32 vcc, s2, v0
	s_waitcnt lgkmcnt(0)
	s_barrier
	s_barrier
	;; [unrolled: 1-line block ×3, first 2 shown]
	s_and_saveexec_b64 s[2:3], vcc
	s_cbranch_execz .LBB1_23
; %bb.22:
	v_add_u32_e32 v2, 0x1600, v1
	v_add_u32_e32 v4, 0x1608, v1
	;; [unrolled: 1-line block ×3, first 2 shown]
	ds_read2_b32 v[2:3], v2 offset1:1
	ds_read2_b32 v[4:5], v4 offset1:1
	;; [unrolled: 1-line block ×4, first 2 shown]
	ds_read2_b32 v[10:11], v1 offset0:2 offset1:3
	ds_read2_b32 v[12:13], v1 offset0:4 offset1:5
	;; [unrolled: 1-line block ×4, first 2 shown]
	s_waitcnt lgkmcnt(4)
	v_add_u32_e32 v3, v9, v3
	v_add_u32_e32 v2, v8, v2
	ds_write2_b32 v1, v2, v3 offset1:1
	s_waitcnt lgkmcnt(4)
	v_add_u32_e32 v2, v11, v5
	v_add_u32_e32 v3, v10, v4
	ds_write2_b32 v1, v3, v2 offset0:2 offset1:3
	v_add_u32_e32 v2, 0x1618, v1
	ds_read2_b32 v[2:3], v2 offset1:1
	s_waitcnt lgkmcnt(5)
	v_add_u32_e32 v4, v13, v7
	v_add_u32_e32 v5, v12, v6
	ds_write2_b32 v1, v5, v4 offset0:4 offset1:5
	v_add_u32_e32 v4, 0x1620, v1
	ds_read2_b32 v[4:5], v4 offset1:1
	s_waitcnt lgkmcnt(2)
	v_add_u32_e32 v7, v14, v2
	v_add_u32_e32 v2, 40, v1
	;; [unrolled: 1-line block ×3, first 2 shown]
	ds_read2st64_b32 v[2:3], v2 offset1:22
	s_waitcnt lgkmcnt(1)
	v_add_u32_e32 v5, v17, v5
	v_add_u32_e32 v4, v16, v4
	ds_write2_b32 v1, v7, v6 offset0:6 offset1:7
	ds_write2_b32 v1, v4, v5 offset0:8 offset1:9
	s_waitcnt lgkmcnt(2)
	v_add_u32_e32 v2, v2, v3
	ds_write_b32 v1, v2 offset:40
.LBB1_23:
	s_or_b64 exec, exec, s[2:3]
	v_cmp_gt_u32_e32 vcc, 64, v0
	s_waitcnt lgkmcnt(0)
	s_barrier
	s_and_saveexec_b64 s[2:3], vcc
	s_cbranch_execz .LBB1_25
; %bb.24:
	v_add_u32_e32 v2, 0xb00, v1
	v_add_u32_e32 v4, 0xb08, v1
	;; [unrolled: 1-line block ×3, first 2 shown]
	ds_read2_b32 v[2:3], v2 offset1:1
	ds_read2_b32 v[4:5], v4 offset1:1
	;; [unrolled: 1-line block ×4, first 2 shown]
	ds_read2_b32 v[10:11], v1 offset0:2 offset1:3
	ds_read2_b32 v[12:13], v1 offset0:4 offset1:5
	;; [unrolled: 1-line block ×4, first 2 shown]
	s_waitcnt lgkmcnt(4)
	v_add_u32_e32 v3, v9, v3
	v_add_u32_e32 v2, v8, v2
	ds_write2_b32 v1, v2, v3 offset1:1
	s_waitcnt lgkmcnt(4)
	v_add_u32_e32 v2, v11, v5
	v_add_u32_e32 v3, v10, v4
	ds_write2_b32 v1, v3, v2 offset0:2 offset1:3
	v_add_u32_e32 v2, 0xb18, v1
	ds_read2_b32 v[2:3], v2 offset1:1
	s_waitcnt lgkmcnt(5)
	v_add_u32_e32 v4, v13, v7
	v_add_u32_e32 v5, v12, v6
	ds_write2_b32 v1, v5, v4 offset0:4 offset1:5
	v_add_u32_e32 v4, 0xb20, v1
	ds_read2_b32 v[4:5], v4 offset1:1
	s_waitcnt lgkmcnt(2)
	v_add_u32_e32 v7, v14, v2
	v_add_u32_e32 v2, 40, v1
	;; [unrolled: 1-line block ×3, first 2 shown]
	ds_read2st64_b32 v[2:3], v2 offset1:11
	s_waitcnt lgkmcnt(1)
	v_add_u32_e32 v5, v17, v5
	v_add_u32_e32 v4, v16, v4
	ds_write2_b32 v1, v7, v6 offset0:6 offset1:7
	ds_write2_b32 v1, v4, v5 offset0:8 offset1:9
	s_waitcnt lgkmcnt(2)
	v_add_u32_e32 v2, v2, v3
	ds_write_b32 v1, v2 offset:40
.LBB1_25:
	s_or_b64 exec, exec, s[2:3]
	v_cmp_gt_u32_e32 vcc, 32, v0
	s_waitcnt lgkmcnt(0)
	s_barrier
	s_and_saveexec_b64 s[2:3], vcc
	s_cbranch_execz .LBB1_27
; %bb.26:
	v_add_u32_e32 v2, 0x580, v1
	ds_read2_b32 v[2:3], v2 offset1:1
	ds_read2_b32 v[4:5], v1 offset1:1
	ds_read2_b32 v[6:7], v1 offset0:2 offset1:3
	ds_read2_b32 v[8:9], v1 offset0:4 offset1:5
	;; [unrolled: 1-line block ×3, first 2 shown]
	ds_read_b32 v16, v1 offset:1448
	s_waitcnt lgkmcnt(4)
	v_add_u32_e32 v3, v5, v3
	v_add_u32_e32 v2, v4, v2
	ds_write2_b32 v1, v2, v3 offset1:1
	v_add_u32_e32 v2, 0x588, v1
	ds_read2_b32 v[2:3], v2 offset1:1
	v_add_u32_e32 v4, 0x590, v1
	v_add_u32_e32 v12, 0x598, v1
	;; [unrolled: 1-line block ×3, first 2 shown]
	ds_read2_b32 v[4:5], v4 offset1:1
	ds_read2_b32 v[12:13], v12 offset1:1
	;; [unrolled: 1-line block ×3, first 2 shown]
	s_waitcnt lgkmcnt(3)
	v_add_u32_e32 v3, v7, v3
	v_add_u32_e32 v2, v6, v2
	ds_write2_b32 v1, v2, v3 offset0:2 offset1:3
	s_waitcnt lgkmcnt(3)
	v_add_u32_e32 v2, v9, v5
	v_add_u32_e32 v3, v8, v4
	ds_write2_b32 v1, v3, v2 offset0:4 offset1:5
	ds_read2_b32 v[2:3], v1 offset0:8 offset1:9
	ds_read_b32 v6, v1 offset:40
	s_waitcnt lgkmcnt(5)
	v_add_u32_e32 v4, v11, v13
	v_add_u32_e32 v5, v10, v12
	ds_write2_b32 v1, v5, v4 offset0:6 offset1:7
	s_waitcnt lgkmcnt(2)
	v_add_u32_e32 v3, v3, v15
	v_add_u32_e32 v2, v2, v14
	ds_write2_b32 v1, v2, v3 offset0:8 offset1:9
	s_waitcnt lgkmcnt(2)
	v_add_u32_e32 v2, v6, v16
	ds_write_b32 v1, v2 offset:40
.LBB1_27:
	s_or_b64 exec, exec, s[2:3]
	v_cmp_gt_u32_e32 vcc, 16, v0
	s_waitcnt lgkmcnt(0)
	s_barrier
	s_and_saveexec_b64 s[2:3], vcc
	s_cbranch_execz .LBB1_29
; %bb.28:
	ds_read2_b32 v[2:3], v1 offset0:176 offset1:177
	ds_read2_b32 v[4:5], v1 offset0:178 offset1:179
	ds_read2_b32 v[6:7], v1 offset0:180 offset1:181
	ds_read2_b32 v[8:9], v1 offset1:1
	ds_read2_b32 v[10:11], v1 offset0:2 offset1:3
	ds_read2_b32 v[12:13], v1 offset0:4 offset1:5
	ds_read2_b32 v[14:15], v1 offset0:6 offset1:7
	ds_read2_b32 v[16:17], v1 offset0:8 offset1:9
	s_waitcnt lgkmcnt(4)
	v_add_u32_e32 v3, v9, v3
	v_add_u32_e32 v2, v8, v2
	ds_write2_b32 v1, v2, v3 offset1:1
	s_waitcnt lgkmcnt(4)
	v_add_u32_e32 v2, v11, v5
	v_add_u32_e32 v3, v10, v4
	ds_write2_b32 v1, v3, v2 offset0:2 offset1:3
	ds_read2_b32 v[2:3], v1 offset0:182 offset1:183
	s_waitcnt lgkmcnt(5)
	v_add_u32_e32 v4, v13, v7
	v_add_u32_e32 v5, v12, v6
	ds_write2_b32 v1, v5, v4 offset0:4 offset1:5
	ds_read2_b32 v[4:5], v1 offset0:184 offset1:185
	s_waitcnt lgkmcnt(2)
	v_add_u32_e32 v6, v15, v3
	v_add_u32_e32 v7, v14, v2
	ds_read2_b32 v[2:3], v1 offset0:10 offset1:186
	ds_write2_b32 v1, v7, v6 offset0:6 offset1:7
	s_waitcnt lgkmcnt(2)
	v_add_u32_e32 v5, v17, v5
	v_add_u32_e32 v4, v16, v4
	ds_write2_b32 v1, v4, v5 offset0:8 offset1:9
	s_waitcnt lgkmcnt(2)
	v_add_u32_e32 v2, v2, v3
	ds_write_b32 v1, v2 offset:40
.LBB1_29:
	s_or_b64 exec, exec, s[2:3]
	v_cmp_gt_u32_e32 vcc, 8, v0
	s_waitcnt lgkmcnt(0)
	s_barrier
	s_and_saveexec_b64 s[2:3], vcc
	s_cbranch_execz .LBB1_31
; %bb.30:
	ds_read2_b32 v[2:3], v1 offset0:88 offset1:89
	ds_read2_b32 v[4:5], v1 offset0:90 offset1:91
	ds_read2_b32 v[6:7], v1 offset0:92 offset1:93
	ds_read2_b32 v[8:9], v1 offset1:1
	ds_read2_b32 v[10:11], v1 offset0:2 offset1:3
	ds_read2_b32 v[12:13], v1 offset0:4 offset1:5
	ds_read2_b32 v[14:15], v1 offset0:6 offset1:7
	ds_read2_b32 v[16:17], v1 offset0:8 offset1:9
	s_waitcnt lgkmcnt(4)
	v_add_u32_e32 v3, v9, v3
	v_add_u32_e32 v2, v8, v2
	ds_write2_b32 v1, v2, v3 offset1:1
	s_waitcnt lgkmcnt(4)
	v_add_u32_e32 v2, v11, v5
	v_add_u32_e32 v3, v10, v4
	ds_write2_b32 v1, v3, v2 offset0:2 offset1:3
	ds_read2_b32 v[2:3], v1 offset0:94 offset1:95
	s_waitcnt lgkmcnt(5)
	v_add_u32_e32 v4, v13, v7
	v_add_u32_e32 v5, v12, v6
	ds_write2_b32 v1, v5, v4 offset0:4 offset1:5
	ds_read2_b32 v[4:5], v1 offset0:96 offset1:97
	s_waitcnt lgkmcnt(2)
	v_add_u32_e32 v6, v15, v3
	v_add_u32_e32 v7, v14, v2
	ds_read2_b32 v[2:3], v1 offset0:10 offset1:98
	ds_write2_b32 v1, v7, v6 offset0:6 offset1:7
	s_waitcnt lgkmcnt(2)
	v_add_u32_e32 v5, v17, v5
	v_add_u32_e32 v4, v16, v4
	ds_write2_b32 v1, v4, v5 offset0:8 offset1:9
	s_waitcnt lgkmcnt(2)
	v_add_u32_e32 v2, v2, v3
	ds_write_b32 v1, v2 offset:40
.LBB1_31:
	;; [unrolled: 42-line block ×4, first 2 shown]
	s_or_b64 exec, exec, s[2:3]
	v_cmp_eq_u32_e32 vcc, 0, v0
	s_waitcnt lgkmcnt(0)
	s_barrier
	s_and_saveexec_b64 s[2:3], vcc
	s_cbranch_execz .LBB1_37
; %bb.36:
	v_mov_b32_e32 v1, 0
	ds_read2_b32 v[14:15], v1 offset0:11 offset1:12
	ds_read_b128 v[2:5], v1
	ds_read_b128 v[6:9], v1 offset:16
	ds_read_b96 v[10:12], v1 offset:32
	ds_read2_b32 v[16:17], v1 offset0:13 offset1:14
	s_waitcnt lgkmcnt(3)
	v_add_u32_e32 v3, v3, v15
	v_add_u32_e32 v2, v2, v14
	ds_read2_b32 v[14:15], v1 offset0:15 offset1:16
	ds_read2_b32 v[18:19], v1 offset0:17 offset1:18
	;; [unrolled: 1-line block ×3, first 2 shown]
	s_waitcnt lgkmcnt(3)
	v_add_u32_e32 v5, v5, v17
	v_add_u32_e32 v4, v4, v16
	ds_write_b128 v1, v[2:5]
	s_waitcnt lgkmcnt(3)
	v_add_u32_e32 v2, v6, v14
	ds_read_b32 v6, v1 offset:84
	v_add_u32_e32 v3, v7, v15
	s_waitcnt lgkmcnt(3)
	v_add_u32_e32 v5, v9, v19
	v_add_u32_e32 v4, v8, v18
	ds_write_b128 v1, v[2:5] offset:16
	s_waitcnt lgkmcnt(3)
	v_add_u32_e32 v3, v11, v21
	v_add_u32_e32 v2, v10, v20
	s_waitcnt lgkmcnt(1)
	v_add_u32_e32 v4, v12, v6
	ds_write_b96 v1, v[2:4] offset:32
.LBB1_37:
	s_or_b64 exec, exec, s[2:3]
	v_cmp_gt_u32_e32 vcc, 11, v0
	s_waitcnt lgkmcnt(0)
	s_barrier
	s_and_saveexec_b64 s[2:3], vcc
	s_cbranch_execz .LBB1_39
; %bb.38:
	v_mad_u64_u32 v[2:3], s[2:3], s6, 11, v[0:1]
	v_lshlrev_b32_e32 v0, 2, v0
	ds_read_b32 v4, v0
	v_mov_b32_e32 v3, 0
	v_lshlrev_b64 v[2:3], 2, v[2:3]
	v_mov_b32_e32 v1, s1
	v_add_co_u32_e32 v0, vcc, s0, v2
	v_addc_co_u32_e32 v1, vcc, v1, v3, vcc
	s_waitcnt lgkmcnt(0)
	global_store_dword v[0:1], v4, off
.LBB1_39:
	s_endpgm
	.section	.rodata,"a",@progbits
	.p2align	6, 0x0
	.amdhsa_kernel _ZN9rocsparseL26csrgemm_group_reduce_part1ILj256ELj11EiiEEvT2_PT1_PS1_j
		.amdhsa_group_segment_fixed_size 11264
		.amdhsa_private_segment_fixed_size 0
		.amdhsa_kernarg_size 288
		.amdhsa_user_sgpr_count 6
		.amdhsa_user_sgpr_private_segment_buffer 1
		.amdhsa_user_sgpr_dispatch_ptr 0
		.amdhsa_user_sgpr_queue_ptr 0
		.amdhsa_user_sgpr_kernarg_segment_ptr 1
		.amdhsa_user_sgpr_dispatch_id 0
		.amdhsa_user_sgpr_flat_scratch_init 0
		.amdhsa_user_sgpr_kernarg_preload_length 0
		.amdhsa_user_sgpr_kernarg_preload_offset 0
		.amdhsa_user_sgpr_private_segment_size 0
		.amdhsa_uses_dynamic_stack 0
		.amdhsa_system_sgpr_private_segment_wavefront_offset 0
		.amdhsa_system_sgpr_workgroup_id_x 1
		.amdhsa_system_sgpr_workgroup_id_y 0
		.amdhsa_system_sgpr_workgroup_id_z 0
		.amdhsa_system_sgpr_workgroup_info 0
		.amdhsa_system_vgpr_workitem_id 0
		.amdhsa_next_free_vgpr 22
		.amdhsa_next_free_sgpr 46
		.amdhsa_accum_offset 24
		.amdhsa_reserve_vcc 1
		.amdhsa_reserve_flat_scratch 0
		.amdhsa_float_round_mode_32 0
		.amdhsa_float_round_mode_16_64 0
		.amdhsa_float_denorm_mode_32 3
		.amdhsa_float_denorm_mode_16_64 3
		.amdhsa_dx10_clamp 1
		.amdhsa_ieee_mode 1
		.amdhsa_fp16_overflow 0
		.amdhsa_tg_split 0
		.amdhsa_exception_fp_ieee_invalid_op 0
		.amdhsa_exception_fp_denorm_src 0
		.amdhsa_exception_fp_ieee_div_zero 0
		.amdhsa_exception_fp_ieee_overflow 0
		.amdhsa_exception_fp_ieee_underflow 0
		.amdhsa_exception_fp_ieee_inexact 0
		.amdhsa_exception_int_div_zero 0
	.end_amdhsa_kernel
	.section	.text._ZN9rocsparseL26csrgemm_group_reduce_part1ILj256ELj11EiiEEvT2_PT1_PS1_j,"axG",@progbits,_ZN9rocsparseL26csrgemm_group_reduce_part1ILj256ELj11EiiEEvT2_PT1_PS1_j,comdat
.Lfunc_end1:
	.size	_ZN9rocsparseL26csrgemm_group_reduce_part1ILj256ELj11EiiEEvT2_PT1_PS1_j, .Lfunc_end1-_ZN9rocsparseL26csrgemm_group_reduce_part1ILj256ELj11EiiEEvT2_PT1_PS1_j
                                        ; -- End function
	.section	.AMDGPU.csdata,"",@progbits
; Kernel info:
; codeLenInByte = 2612
; NumSgprs: 50
; NumVgprs: 22
; NumAgprs: 0
; TotalNumVgprs: 22
; ScratchSize: 0
; MemoryBound: 0
; FloatMode: 240
; IeeeMode: 1
; LDSByteSize: 11264 bytes/workgroup (compile time only)
; SGPRBlocks: 6
; VGPRBlocks: 2
; NumSGPRsForWavesPerEU: 50
; NumVGPRsForWavesPerEU: 22
; AccumOffset: 24
; Occupancy: 5
; WaveLimiterHint : 0
; COMPUTE_PGM_RSRC2:SCRATCH_EN: 0
; COMPUTE_PGM_RSRC2:USER_SGPR: 6
; COMPUTE_PGM_RSRC2:TRAP_HANDLER: 0
; COMPUTE_PGM_RSRC2:TGID_X_EN: 1
; COMPUTE_PGM_RSRC2:TGID_Y_EN: 0
; COMPUTE_PGM_RSRC2:TGID_Z_EN: 0
; COMPUTE_PGM_RSRC2:TIDIG_COMP_CNT: 0
; COMPUTE_PGM_RSRC3_GFX90A:ACCUM_OFFSET: 5
; COMPUTE_PGM_RSRC3_GFX90A:TG_SPLIT: 0
	.section	.text._ZN9rocsparseL26csrgemm_group_reduce_part3ILj256ELj11EiEEvPT1_,"axG",@progbits,_ZN9rocsparseL26csrgemm_group_reduce_part3ILj256ELj11EiEEvPT1_,comdat
	.globl	_ZN9rocsparseL26csrgemm_group_reduce_part3ILj256ELj11EiEEvPT1_ ; -- Begin function _ZN9rocsparseL26csrgemm_group_reduce_part3ILj256ELj11EiEEvPT1_
	.p2align	8
	.type	_ZN9rocsparseL26csrgemm_group_reduce_part3ILj256ELj11EiEEvPT1_,@function
_ZN9rocsparseL26csrgemm_group_reduce_part3ILj256ELj11EiEEvPT1_: ; @_ZN9rocsparseL26csrgemm_group_reduce_part3ILj256ELj11EiEEvPT1_
; %bb.0:
	s_load_dwordx2 s[0:1], s[4:5], 0x0
	v_lshlrev_b32_e32 v4, 2, v0
	v_or_b32_e32 v1, 0xffffff00, v0
	s_mov_b64 s[2:3], 0
	s_movk_i32 s4, 0x9ff
	s_waitcnt lgkmcnt(0)
	v_mov_b32_e32 v3, s1
	v_add_co_u32_e32 v2, vcc, s0, v4
	v_addc_co_u32_e32 v3, vcc, 0, v3, vcc
.LBB2_1:                                ; =>This Inner Loop Header: Depth=1
	global_load_dword v5, v[2:3], off
	v_add_co_u32_e32 v2, vcc, 0x400, v2
	v_add_u32_e32 v1, 0x100, v1
	v_addc_co_u32_e32 v3, vcc, 0, v3, vcc
	v_cmp_lt_u32_e32 vcc, s4, v1
	s_or_b64 s[2:3], vcc, s[2:3]
	s_waitcnt vmcnt(0)
	ds_write_b32 v4, v5
	v_add_u32_e32 v4, 0x400, v4
	s_andn2_b64 exec, exec, s[2:3]
	s_cbranch_execnz .LBB2_1
; %bb.2:
	s_or_b64 exec, exec, s[2:3]
	s_movk_i32 s2, 0x80
	v_cmp_gt_u32_e32 vcc, s2, v0
	v_mul_u32_u24_e32 v1, 44, v0
	s_waitcnt lgkmcnt(0)
	s_barrier
	s_barrier
	;; [unrolled: 1-line block ×3, first 2 shown]
	s_and_saveexec_b64 s[2:3], vcc
	s_cbranch_execz .LBB2_4
; %bb.3:
	v_mov_b32_e32 v2, 0x1600
	v_mad_u32_u24 v8, v0, 44, v2
	v_mov_b32_e32 v2, 0x1608
	v_mad_u32_u24 v10, v0, 44, v2
	v_mov_b32_e32 v2, 0x1610
	v_mov_b32_e32 v9, 0x1618
	v_mad_u32_u24 v12, v0, 44, v2
	ds_read2_b32 v[2:3], v1 offset1:1
	ds_read2_b32 v[4:5], v1 offset0:2 offset1:3
	ds_read2_b32 v[6:7], v1 offset0:4 offset1:5
	v_mad_u32_u24 v14, v0, 44, v9
	ds_read2_b32 v[8:9], v8 offset1:1
	ds_read2_b32 v[10:11], v10 offset1:1
	;; [unrolled: 1-line block ×4, first 2 shown]
	v_mov_b32_e32 v16, 0x1620
	s_waitcnt lgkmcnt(3)
	v_add_u32_e32 v3, v3, v9
	v_add_u32_e32 v2, v2, v8
	ds_write2_b32 v1, v2, v3 offset1:1
	s_waitcnt lgkmcnt(3)
	v_add_u32_e32 v2, v5, v11
	v_add_u32_e32 v3, v4, v10
	ds_write2_b32 v1, v3, v2 offset0:2 offset1:3
	ds_read2_b32 v[2:3], v1 offset0:6 offset1:7
	v_mad_u32_u24 v16, v0, 44, v16
	s_waitcnt lgkmcnt(4)
	v_add_u32_e32 v4, v7, v13
	v_add_u32_e32 v5, v6, v12
	ds_read2_b32 v[16:17], v16 offset1:1
	ds_write2_b32 v1, v5, v4 offset0:4 offset1:5
	ds_read2_b32 v[4:5], v1 offset0:8 offset1:9
	s_waitcnt lgkmcnt(3)
	v_add_u32_e32 v7, v2, v14
	v_add_u32_e32 v2, 40, v1
	;; [unrolled: 1-line block ×3, first 2 shown]
	ds_read2st64_b32 v[2:3], v2 offset1:22
	s_waitcnt lgkmcnt(1)
	v_add_u32_e32 v5, v5, v17
	v_add_u32_e32 v4, v4, v16
	ds_write2_b32 v1, v7, v6 offset0:6 offset1:7
	ds_write2_b32 v1, v4, v5 offset0:8 offset1:9
	s_waitcnt lgkmcnt(2)
	v_add_u32_e32 v2, v2, v3
	ds_write_b32 v1, v2 offset:40
.LBB2_4:
	s_or_b64 exec, exec, s[2:3]
	v_cmp_gt_u32_e32 vcc, 64, v0
	s_waitcnt lgkmcnt(0)
	s_barrier
	s_and_saveexec_b64 s[2:3], vcc
	s_cbranch_execz .LBB2_6
; %bb.5:
	v_mov_b32_e32 v2, 0xb00
	v_mad_u32_u24 v8, v0, 44, v2
	v_mov_b32_e32 v2, 0xb08
	v_mad_u32_u24 v10, v0, 44, v2
	v_mov_b32_e32 v2, 0xb10
	v_mov_b32_e32 v9, 0xb18
	v_mad_u32_u24 v12, v0, 44, v2
	ds_read2_b32 v[2:3], v1 offset1:1
	ds_read2_b32 v[4:5], v1 offset0:2 offset1:3
	ds_read2_b32 v[6:7], v1 offset0:4 offset1:5
	v_mad_u32_u24 v14, v0, 44, v9
	ds_read2_b32 v[8:9], v8 offset1:1
	ds_read2_b32 v[10:11], v10 offset1:1
	;; [unrolled: 1-line block ×4, first 2 shown]
	v_mov_b32_e32 v16, 0xb20
	s_waitcnt lgkmcnt(3)
	v_add_u32_e32 v3, v3, v9
	v_add_u32_e32 v2, v2, v8
	ds_write2_b32 v1, v2, v3 offset1:1
	s_waitcnt lgkmcnt(3)
	v_add_u32_e32 v2, v5, v11
	v_add_u32_e32 v3, v4, v10
	ds_write2_b32 v1, v3, v2 offset0:2 offset1:3
	ds_read2_b32 v[2:3], v1 offset0:6 offset1:7
	v_mad_u32_u24 v16, v0, 44, v16
	s_waitcnt lgkmcnt(4)
	v_add_u32_e32 v4, v7, v13
	v_add_u32_e32 v5, v6, v12
	ds_read2_b32 v[16:17], v16 offset1:1
	ds_write2_b32 v1, v5, v4 offset0:4 offset1:5
	ds_read2_b32 v[4:5], v1 offset0:8 offset1:9
	s_waitcnt lgkmcnt(3)
	v_add_u32_e32 v7, v2, v14
	v_add_u32_e32 v2, 40, v1
	;; [unrolled: 1-line block ×3, first 2 shown]
	ds_read2st64_b32 v[2:3], v2 offset1:11
	s_waitcnt lgkmcnt(1)
	v_add_u32_e32 v5, v5, v17
	v_add_u32_e32 v4, v4, v16
	ds_write2_b32 v1, v7, v6 offset0:6 offset1:7
	ds_write2_b32 v1, v4, v5 offset0:8 offset1:9
	s_waitcnt lgkmcnt(2)
	v_add_u32_e32 v2, v2, v3
	ds_write_b32 v1, v2 offset:40
.LBB2_6:
	s_or_b64 exec, exec, s[2:3]
	v_cmp_gt_u32_e32 vcc, 32, v0
	s_waitcnt lgkmcnt(0)
	s_barrier
	s_and_saveexec_b64 s[2:3], vcc
	s_cbranch_execz .LBB2_8
; %bb.7:
	v_mov_b32_e32 v2, 0x580
	v_mad_u32_u24 v8, v0, 44, v2
	v_mov_b32_e32 v2, 0x588
	v_mad_u32_u24 v10, v0, 44, v2
	v_mov_b32_e32 v2, 0x590
	v_mov_b32_e32 v9, 0x598
	v_mad_u32_u24 v12, v0, 44, v2
	ds_read2_b32 v[2:3], v1 offset1:1
	ds_read2_b32 v[4:5], v1 offset0:2 offset1:3
	ds_read2_b32 v[6:7], v1 offset0:4 offset1:5
	v_mad_u32_u24 v14, v0, 44, v9
	ds_read2_b32 v[8:9], v8 offset1:1
	ds_read2_b32 v[10:11], v10 offset1:1
	;; [unrolled: 1-line block ×4, first 2 shown]
	v_mov_b32_e32 v16, 0x5a0
	s_waitcnt lgkmcnt(3)
	v_add_u32_e32 v3, v3, v9
	v_add_u32_e32 v2, v2, v8
	v_mad_u32_u24 v16, v0, 44, v16
	ds_write2_b32 v1, v2, v3 offset1:1
	s_waitcnt lgkmcnt(3)
	v_add_u32_e32 v2, v5, v11
	v_add_u32_e32 v3, v4, v10
	ds_read2_b32 v[16:17], v16 offset1:1
	ds_write2_b32 v1, v3, v2 offset0:2 offset1:3
	ds_read2_b32 v[2:3], v1 offset0:6 offset1:7
	s_waitcnt lgkmcnt(5)
	v_add_u32_e32 v4, v7, v13
	v_add_u32_e32 v5, v6, v12
	ds_write2_b32 v1, v5, v4 offset0:4 offset1:5
	ds_read2_b32 v[4:5], v1 offset0:8 offset1:9
	ds_read_b32 v6, v1 offset:1448
	ds_read_b32 v7, v1 offset:40
	s_waitcnt lgkmcnt(4)
	v_add_u32_e32 v3, v3, v15
	v_add_u32_e32 v2, v2, v14
	ds_write2_b32 v1, v2, v3 offset0:6 offset1:7
	s_waitcnt lgkmcnt(3)
	v_add_u32_e32 v2, v5, v17
	v_add_u32_e32 v3, v4, v16
	ds_write2_b32 v1, v3, v2 offset0:8 offset1:9
	s_waitcnt lgkmcnt(2)
	v_add_u32_e32 v2, v7, v6
	ds_write_b32 v1, v2 offset:40
.LBB2_8:
	s_or_b64 exec, exec, s[2:3]
	v_cmp_gt_u32_e32 vcc, 16, v0
	s_waitcnt lgkmcnt(0)
	s_barrier
	s_and_saveexec_b64 s[2:3], vcc
	s_cbranch_execz .LBB2_10
; %bb.9:
	ds_read2_b32 v[2:3], v1 offset0:176 offset1:177
	ds_read2_b32 v[4:5], v1 offset0:178 offset1:179
	ds_read2_b32 v[6:7], v1 offset0:180 offset1:181
	ds_read2_b32 v[8:9], v1 offset1:1
	ds_read2_b32 v[10:11], v1 offset0:2 offset1:3
	ds_read2_b32 v[12:13], v1 offset0:4 offset1:5
	ds_read2_b32 v[14:15], v1 offset0:6 offset1:7
	ds_read2_b32 v[16:17], v1 offset0:8 offset1:9
	s_waitcnt lgkmcnt(4)
	v_add_u32_e32 v3, v9, v3
	v_add_u32_e32 v2, v8, v2
	ds_write2_b32 v1, v2, v3 offset1:1
	s_waitcnt lgkmcnt(4)
	v_add_u32_e32 v2, v11, v5
	v_add_u32_e32 v3, v10, v4
	ds_write2_b32 v1, v3, v2 offset0:2 offset1:3
	ds_read2_b32 v[2:3], v1 offset0:182 offset1:183
	s_waitcnt lgkmcnt(5)
	v_add_u32_e32 v4, v13, v7
	v_add_u32_e32 v5, v12, v6
	ds_write2_b32 v1, v5, v4 offset0:4 offset1:5
	ds_read2_b32 v[4:5], v1 offset0:184 offset1:185
	s_waitcnt lgkmcnt(2)
	v_add_u32_e32 v6, v15, v3
	v_add_u32_e32 v7, v14, v2
	ds_read2_b32 v[2:3], v1 offset0:10 offset1:186
	ds_write2_b32 v1, v7, v6 offset0:6 offset1:7
	s_waitcnt lgkmcnt(2)
	v_add_u32_e32 v5, v17, v5
	v_add_u32_e32 v4, v16, v4
	ds_write2_b32 v1, v4, v5 offset0:8 offset1:9
	s_waitcnt lgkmcnt(2)
	v_add_u32_e32 v2, v2, v3
	ds_write_b32 v1, v2 offset:40
.LBB2_10:
	s_or_b64 exec, exec, s[2:3]
	v_cmp_gt_u32_e32 vcc, 8, v0
	s_waitcnt lgkmcnt(0)
	s_barrier
	s_and_saveexec_b64 s[2:3], vcc
	s_cbranch_execz .LBB2_12
; %bb.11:
	ds_read2_b32 v[2:3], v1 offset0:88 offset1:89
	ds_read2_b32 v[4:5], v1 offset0:90 offset1:91
	ds_read2_b32 v[6:7], v1 offset0:92 offset1:93
	ds_read2_b32 v[8:9], v1 offset1:1
	ds_read2_b32 v[10:11], v1 offset0:2 offset1:3
	ds_read2_b32 v[12:13], v1 offset0:4 offset1:5
	ds_read2_b32 v[14:15], v1 offset0:6 offset1:7
	ds_read2_b32 v[16:17], v1 offset0:8 offset1:9
	s_waitcnt lgkmcnt(4)
	v_add_u32_e32 v3, v9, v3
	v_add_u32_e32 v2, v8, v2
	ds_write2_b32 v1, v2, v3 offset1:1
	s_waitcnt lgkmcnt(4)
	v_add_u32_e32 v2, v11, v5
	v_add_u32_e32 v3, v10, v4
	ds_write2_b32 v1, v3, v2 offset0:2 offset1:3
	ds_read2_b32 v[2:3], v1 offset0:94 offset1:95
	s_waitcnt lgkmcnt(5)
	v_add_u32_e32 v4, v13, v7
	v_add_u32_e32 v5, v12, v6
	ds_write2_b32 v1, v5, v4 offset0:4 offset1:5
	ds_read2_b32 v[4:5], v1 offset0:96 offset1:97
	s_waitcnt lgkmcnt(2)
	v_add_u32_e32 v6, v15, v3
	v_add_u32_e32 v7, v14, v2
	ds_read2_b32 v[2:3], v1 offset0:10 offset1:98
	ds_write2_b32 v1, v7, v6 offset0:6 offset1:7
	s_waitcnt lgkmcnt(2)
	v_add_u32_e32 v5, v17, v5
	v_add_u32_e32 v4, v16, v4
	ds_write2_b32 v1, v4, v5 offset0:8 offset1:9
	s_waitcnt lgkmcnt(2)
	v_add_u32_e32 v2, v2, v3
	ds_write_b32 v1, v2 offset:40
.LBB2_12:
	;; [unrolled: 42-line block ×3, first 2 shown]
	s_or_b64 exec, exec, s[2:3]
	v_cmp_gt_u32_e32 vcc, 2, v0
	s_waitcnt lgkmcnt(0)
	s_barrier
	s_and_saveexec_b64 s[2:3], vcc
	s_cbranch_execz .LBB2_16
; %bb.15:
	v_mul_u32_u24_e32 v1, 11, v0
	v_lshlrev_b32_e32 v1, 2, v1
	ds_read2_b32 v[2:3], v1 offset0:22 offset1:23
	ds_read2_b32 v[4:5], v1 offset0:24 offset1:25
	;; [unrolled: 1-line block ×3, first 2 shown]
	ds_read2_b32 v[8:9], v1 offset1:1
	ds_read2_b32 v[10:11], v1 offset0:2 offset1:3
	ds_read2_b32 v[12:13], v1 offset0:4 offset1:5
	;; [unrolled: 1-line block ×4, first 2 shown]
	s_waitcnt lgkmcnt(4)
	v_add_u32_e32 v3, v9, v3
	v_add_u32_e32 v2, v8, v2
	ds_write2_b32 v1, v2, v3 offset1:1
	s_waitcnt lgkmcnt(4)
	v_add_u32_e32 v2, v11, v5
	v_add_u32_e32 v3, v10, v4
	ds_write2_b32 v1, v3, v2 offset0:2 offset1:3
	ds_read2_b32 v[2:3], v1 offset0:28 offset1:29
	s_waitcnt lgkmcnt(5)
	v_add_u32_e32 v4, v13, v7
	v_add_u32_e32 v5, v12, v6
	ds_write2_b32 v1, v5, v4 offset0:4 offset1:5
	ds_read2_b32 v[4:5], v1 offset0:30 offset1:31
	s_waitcnt lgkmcnt(2)
	v_add_u32_e32 v6, v15, v3
	v_add_u32_e32 v7, v14, v2
	ds_read2_b32 v[2:3], v1 offset0:10 offset1:32
	ds_write2_b32 v1, v7, v6 offset0:6 offset1:7
	s_waitcnt lgkmcnt(2)
	v_add_u32_e32 v5, v17, v5
	v_add_u32_e32 v4, v16, v4
	ds_write2_b32 v1, v4, v5 offset0:8 offset1:9
	s_waitcnt lgkmcnt(2)
	v_add_u32_e32 v2, v2, v3
	ds_write_b32 v1, v2 offset:40
.LBB2_16:
	s_or_b64 exec, exec, s[2:3]
	v_cmp_eq_u32_e32 vcc, 0, v0
	s_waitcnt lgkmcnt(0)
	s_barrier
	s_and_saveexec_b64 s[2:3], vcc
	s_cbranch_execz .LBB2_18
; %bb.17:
	v_mov_b32_e32 v1, 0
	ds_read2_b32 v[14:15], v1 offset0:11 offset1:12
	ds_read_b128 v[2:5], v1
	ds_read_b128 v[6:9], v1 offset:16
	ds_read_b96 v[10:12], v1 offset:32
	ds_read2_b32 v[16:17], v1 offset0:13 offset1:14
	s_waitcnt lgkmcnt(3)
	v_add_u32_e32 v3, v3, v15
	v_add_u32_e32 v2, v2, v14
	ds_read2_b32 v[14:15], v1 offset0:15 offset1:16
	ds_read2_b32 v[18:19], v1 offset0:17 offset1:18
	;; [unrolled: 1-line block ×3, first 2 shown]
	s_waitcnt lgkmcnt(3)
	v_add_u32_e32 v5, v5, v17
	v_add_u32_e32 v4, v4, v16
	ds_write_b128 v1, v[2:5]
	s_waitcnt lgkmcnt(3)
	v_add_u32_e32 v2, v6, v14
	ds_read_b32 v6, v1 offset:84
	v_add_u32_e32 v3, v7, v15
	s_waitcnt lgkmcnt(3)
	v_add_u32_e32 v5, v9, v19
	v_add_u32_e32 v4, v8, v18
	ds_write_b128 v1, v[2:5] offset:16
	s_waitcnt lgkmcnt(3)
	v_add_u32_e32 v3, v11, v21
	v_add_u32_e32 v2, v10, v20
	s_waitcnt lgkmcnt(1)
	v_add_u32_e32 v4, v12, v6
	ds_write_b96 v1, v[2:4] offset:32
.LBB2_18:
	s_or_b64 exec, exec, s[2:3]
	v_cmp_gt_u32_e32 vcc, 11, v0
	s_waitcnt lgkmcnt(0)
	s_barrier
	s_and_saveexec_b64 s[2:3], vcc
	s_cbranch_execz .LBB2_20
; %bb.19:
	v_lshlrev_b32_e32 v0, 2, v0
	ds_read_b32 v1, v0
	s_waitcnt lgkmcnt(0)
	global_store_dword v0, v1, s[0:1]
.LBB2_20:
	s_endpgm
	.section	.rodata,"a",@progbits
	.p2align	6, 0x0
	.amdhsa_kernel _ZN9rocsparseL26csrgemm_group_reduce_part3ILj256ELj11EiEEvPT1_
		.amdhsa_group_segment_fixed_size 11264
		.amdhsa_private_segment_fixed_size 0
		.amdhsa_kernarg_size 8
		.amdhsa_user_sgpr_count 6
		.amdhsa_user_sgpr_private_segment_buffer 1
		.amdhsa_user_sgpr_dispatch_ptr 0
		.amdhsa_user_sgpr_queue_ptr 0
		.amdhsa_user_sgpr_kernarg_segment_ptr 1
		.amdhsa_user_sgpr_dispatch_id 0
		.amdhsa_user_sgpr_flat_scratch_init 0
		.amdhsa_user_sgpr_kernarg_preload_length 0
		.amdhsa_user_sgpr_kernarg_preload_offset 0
		.amdhsa_user_sgpr_private_segment_size 0
		.amdhsa_uses_dynamic_stack 0
		.amdhsa_system_sgpr_private_segment_wavefront_offset 0
		.amdhsa_system_sgpr_workgroup_id_x 1
		.amdhsa_system_sgpr_workgroup_id_y 0
		.amdhsa_system_sgpr_workgroup_id_z 0
		.amdhsa_system_sgpr_workgroup_info 0
		.amdhsa_system_vgpr_workitem_id 0
		.amdhsa_next_free_vgpr 22
		.amdhsa_next_free_sgpr 6
		.amdhsa_accum_offset 24
		.amdhsa_reserve_vcc 1
		.amdhsa_reserve_flat_scratch 0
		.amdhsa_float_round_mode_32 0
		.amdhsa_float_round_mode_16_64 0
		.amdhsa_float_denorm_mode_32 3
		.amdhsa_float_denorm_mode_16_64 3
		.amdhsa_dx10_clamp 1
		.amdhsa_ieee_mode 1
		.amdhsa_fp16_overflow 0
		.amdhsa_tg_split 0
		.amdhsa_exception_fp_ieee_invalid_op 0
		.amdhsa_exception_fp_denorm_src 0
		.amdhsa_exception_fp_ieee_div_zero 0
		.amdhsa_exception_fp_ieee_overflow 0
		.amdhsa_exception_fp_ieee_underflow 0
		.amdhsa_exception_fp_ieee_inexact 0
		.amdhsa_exception_int_div_zero 0
	.end_amdhsa_kernel
	.section	.text._ZN9rocsparseL26csrgemm_group_reduce_part3ILj256ELj11EiEEvPT1_,"axG",@progbits,_ZN9rocsparseL26csrgemm_group_reduce_part3ILj256ELj11EiEEvPT1_,comdat
.Lfunc_end2:
	.size	_ZN9rocsparseL26csrgemm_group_reduce_part3ILj256ELj11EiEEvPT1_, .Lfunc_end2-_ZN9rocsparseL26csrgemm_group_reduce_part3ILj256ELj11EiEEvPT1_
                                        ; -- End function
	.section	.AMDGPU.csdata,"",@progbits
; Kernel info:
; codeLenInByte = 2228
; NumSgprs: 10
; NumVgprs: 22
; NumAgprs: 0
; TotalNumVgprs: 22
; ScratchSize: 0
; MemoryBound: 1
; FloatMode: 240
; IeeeMode: 1
; LDSByteSize: 11264 bytes/workgroup (compile time only)
; SGPRBlocks: 1
; VGPRBlocks: 2
; NumSGPRsForWavesPerEU: 10
; NumVGPRsForWavesPerEU: 22
; AccumOffset: 24
; Occupancy: 5
; WaveLimiterHint : 1
; COMPUTE_PGM_RSRC2:SCRATCH_EN: 0
; COMPUTE_PGM_RSRC2:USER_SGPR: 6
; COMPUTE_PGM_RSRC2:TRAP_HANDLER: 0
; COMPUTE_PGM_RSRC2:TGID_X_EN: 1
; COMPUTE_PGM_RSRC2:TGID_Y_EN: 0
; COMPUTE_PGM_RSRC2:TGID_Z_EN: 0
; COMPUTE_PGM_RSRC2:TIDIG_COMP_CNT: 0
; COMPUTE_PGM_RSRC3_GFX90A:ACCUM_OFFSET: 5
; COMPUTE_PGM_RSRC3_GFX90A:TG_SPLIT: 0
	.section	.text._ZN9rocsparseL22csrgemm_nnz_wf_per_rowILj128ELj4ELj32ELj79EiiEEvT4_PKS1_S3_PKT3_S3_S6_S3_S6_S3_PS4_21rocsparse_index_base_S8_S8_bb,"axG",@progbits,_ZN9rocsparseL22csrgemm_nnz_wf_per_rowILj128ELj4ELj32ELj79EiiEEvT4_PKS1_S3_PKT3_S3_S6_S3_S6_S3_PS4_21rocsparse_index_base_S8_S8_bb,comdat
	.globl	_ZN9rocsparseL22csrgemm_nnz_wf_per_rowILj128ELj4ELj32ELj79EiiEEvT4_PKS1_S3_PKT3_S3_S6_S3_S6_S3_PS4_21rocsparse_index_base_S8_S8_bb ; -- Begin function _ZN9rocsparseL22csrgemm_nnz_wf_per_rowILj128ELj4ELj32ELj79EiiEEvT4_PKS1_S3_PKT3_S3_S6_S3_S6_S3_PS4_21rocsparse_index_base_S8_S8_bb
	.p2align	8
	.type	_ZN9rocsparseL22csrgemm_nnz_wf_per_rowILj128ELj4ELj32ELj79EiiEEvT4_PKS1_S3_PKT3_S3_S6_S3_S6_S3_PS4_21rocsparse_index_base_S8_S8_bb,@function
_ZN9rocsparseL22csrgemm_nnz_wf_per_rowILj128ELj4ELj32ELj79EiiEEvT4_PKS1_S3_PKT3_S3_S6_S3_S6_S3_PS4_21rocsparse_index_base_S8_S8_bb: ; @_ZN9rocsparseL22csrgemm_nnz_wf_per_rowILj128ELj4ELj32ELj79EiiEEvT4_PKS1_S3_PKT3_S3_S6_S3_S6_S3_PS4_21rocsparse_index_base_S8_S8_bb
; %bb.0:
	s_load_dword s0, s[4:5], 0x0
	s_lshl_b32 s1, s6, 5
	v_and_b32_e32 v6, 3, v0
	v_lshrrev_b32_e32 v0, 2, v0
	s_and_b32 s1, s1, 0x3fffffe0
	v_lshlrev_b32_e32 v7, 7, v0
	v_or_b32_e32 v0, s1, v0
	v_lshl_or_b32 v1, v6, 2, v7
	v_mov_b32_e32 v2, -1
	s_waitcnt lgkmcnt(0)
	v_cmp_gt_i32_e32 vcc, s0, v0
	ds_write2_b32 v1, v2, v2 offset1:4
	ds_write2_b32 v1, v2, v2 offset0:8 offset1:12
	ds_write2_b32 v1, v2, v2 offset0:16 offset1:20
	ds_write2_b32 v1, v2, v2 offset0:24 offset1:28
	s_waitcnt lgkmcnt(0)
	s_and_saveexec_b64 s[0:1], vcc
	s_cbranch_execz .LBB3_37
; %bb.1:
	s_load_dwordx2 s[0:1], s[4:5], 0x10
	s_waitcnt lgkmcnt(0)
	s_cmp_eq_u64 s[0:1], 0
	s_cbranch_scc1 .LBB3_3
; %bb.2:
	s_load_dwordx2 s[2:3], s[4:5], 0x8
	v_mov_b32_e32 v2, s1
	s_waitcnt lgkmcnt(0)
	s_load_dword s2, s[2:3], 0x0
	s_waitcnt lgkmcnt(0)
	v_add_u32_e32 v0, s2, v0
	v_ashrrev_i32_e32 v1, 31, v0
	v_lshlrev_b64 v[0:1], 2, v[0:1]
	v_add_co_u32_e32 v0, vcc, s0, v0
	v_addc_co_u32_e32 v1, vcc, v2, v1, vcc
	global_load_dword v0, v[0:1], off
.LBB3_3:
	s_load_dwordx4 s[8:11], s[4:5], 0x50
	v_mov_b32_e32 v8, 0
	s_waitcnt vmcnt(0)
	v_ashrrev_i32_e32 v1, 31, v0
	s_waitcnt lgkmcnt(0)
	s_bitcmp0_b32 s11, 0
	s_cbranch_scc1 .LBB3_21
; %bb.4:
	s_load_dwordx2 s[0:1], s[4:5], 0x18
	v_lshlrev_b64 v[2:3], 2, v[0:1]
	v_mov_b32_e32 v8, 0
	s_waitcnt lgkmcnt(0)
	v_mov_b32_e32 v4, s1
	v_add_co_u32_e32 v2, vcc, s0, v2
	v_addc_co_u32_e32 v3, vcc, v4, v3, vcc
	global_load_dwordx2 v[2:3], v[2:3], off
	v_subrev_u32_e32 v4, s8, v6
	s_waitcnt vmcnt(0)
	v_subrev_u32_e32 v9, s8, v3
	v_add_u32_e32 v2, v4, v2
	v_cmp_lt_i32_e32 vcc, v2, v9
	s_and_saveexec_b64 s[2:3], vcc
	s_cbranch_execz .LBB3_20
; %bb.5:
	s_load_dwordx4 s[12:15], s[4:5], 0x20
	s_load_dwordx2 s[6:7], s[4:5], 0x30
	s_mov_b64 s[16:17], 0
	v_mov_b32_e32 v8, 0
	v_mov_b32_e32 v12, -1
	s_waitcnt lgkmcnt(0)
	v_mov_b32_e32 v10, s13
	v_mov_b32_e32 v11, s15
	s_branch .LBB3_8
.LBB3_6:                                ;   in Loop: Header=BB3_8 Depth=1
	s_or_b64 exec, exec, s[20:21]
.LBB3_7:                                ;   in Loop: Header=BB3_8 Depth=1
	s_or_b64 exec, exec, s[18:19]
	v_add_u32_e32 v2, 4, v2
	v_cmp_ge_i32_e32 vcc, v2, v9
	s_or_b64 s[16:17], vcc, s[16:17]
	s_andn2_b64 exec, exec, s[16:17]
	s_cbranch_execz .LBB3_19
.LBB3_8:                                ; =>This Loop Header: Depth=1
                                        ;     Child Loop BB3_11 Depth 2
                                        ;       Child Loop BB3_14 Depth 3
	v_ashrrev_i32_e32 v3, 31, v2
	v_lshlrev_b64 v[4:5], 2, v[2:3]
	v_add_co_u32_e32 v4, vcc, s12, v4
	v_addc_co_u32_e32 v5, vcc, v10, v5, vcc
	global_load_dword v3, v[4:5], off
	s_waitcnt vmcnt(0)
	v_subrev_u32_e32 v4, s8, v3
	v_ashrrev_i32_e32 v5, 31, v4
	v_lshlrev_b64 v[4:5], 2, v[4:5]
	v_add_co_u32_e32 v4, vcc, s14, v4
	v_addc_co_u32_e32 v5, vcc, v11, v5, vcc
	global_load_dwordx2 v[4:5], v[4:5], off
	s_waitcnt vmcnt(0)
	v_cmp_lt_i32_e32 vcc, v4, v5
	s_and_saveexec_b64 s[18:19], vcc
	s_cbranch_execz .LBB3_7
; %bb.9:                                ;   in Loop: Header=BB3_8 Depth=1
	v_subrev_u32_e32 v3, s9, v5
	v_subrev_u32_e32 v4, s9, v4
	s_mov_b64 s[20:21], 0
	s_branch .LBB3_11
.LBB3_10:                               ;   in Loop: Header=BB3_11 Depth=2
	s_or_b64 exec, exec, s[28:29]
	v_add_u32_e32 v4, 1, v4
	v_cndmask_b32_e64 v5, 0, 1, s[22:23]
	v_cmp_ge_i32_e32 vcc, v4, v3
	s_or_b64 s[20:21], vcc, s[20:21]
	v_add_u32_e32 v8, v8, v5
	s_andn2_b64 exec, exec, s[20:21]
	s_cbranch_execz .LBB3_6
.LBB3_11:                               ;   Parent Loop BB3_8 Depth=1
                                        ; =>  This Loop Header: Depth=2
                                        ;       Child Loop BB3_14 Depth 3
	v_ashrrev_i32_e32 v5, 31, v4
	v_lshlrev_b64 v[14:15], 2, v[4:5]
	v_mov_b32_e32 v5, s7
	v_add_co_u32_e32 v14, vcc, s6, v14
	v_addc_co_u32_e32 v15, vcc, v5, v15, vcc
	global_load_dword v5, v[14:15], off
	s_mov_b64 s[28:29], 0
                                        ; implicit-def: $sgpr22_sgpr23
                                        ; implicit-def: $sgpr24_sgpr25
                                        ; implicit-def: $sgpr26_sgpr27
                                        ; implicit-def: $sgpr30_sgpr31
	s_waitcnt vmcnt(0)
	v_subrev_u32_e32 v5, s9, v5
	v_mul_lo_u32 v13, v5, 15
	v_and_b32_e32 v13, 31, v13
	s_branch .LBB3_14
.LBB3_12:                               ;   in Loop: Header=BB3_14 Depth=3
	s_or_b64 exec, exec, s[38:39]
	s_andn2_b64 s[26:27], s[26:27], exec
	s_and_b64 s[30:31], s[36:37], exec
	s_andn2_b64 s[24:25], s[24:25], exec
	s_and_b64 s[0:1], s[0:1], exec
	s_or_b64 s[26:27], s[26:27], s[30:31]
	s_or_b64 s[24:25], s[24:25], s[0:1]
                                        ; implicit-def: $sgpr30_sgpr31
.LBB3_13:                               ;   in Loop: Header=BB3_14 Depth=3
	s_or_b64 exec, exec, s[34:35]
	s_xor_b64 s[0:1], s[24:25], -1
	s_and_b64 s[0:1], exec, s[0:1]
	s_or_b64 s[28:29], s[0:1], s[28:29]
	s_andn2_b64 s[0:1], s[30:31], exec
	s_and_b64 s[34:35], s[26:27], exec
	s_or_b64 s[30:31], s[0:1], s[34:35]
	s_andn2_b64 s[0:1], s[22:23], exec
	s_or_b64 s[22:23], s[0:1], s[34:35]
	s_andn2_b64 exec, exec, s[28:29]
	s_cbranch_execz .LBB3_10
.LBB3_14:                               ;   Parent Loop BB3_8 Depth=1
                                        ;     Parent Loop BB3_11 Depth=2
                                        ; =>    This Inner Loop Header: Depth=3
	v_lshl_add_u32 v14, v13, 2, v7
	ds_read_b32 v15, v14
	s_andn2_b64 s[26:27], s[26:27], exec
	s_andn2_b64 s[24:25], s[24:25], exec
	s_waitcnt lgkmcnt(0)
	v_cmp_ne_u32_e32 vcc, v15, v5
	s_and_saveexec_b64 s[34:35], vcc
	s_cbranch_execz .LBB3_13
; %bb.15:                               ;   in Loop: Header=BB3_14 Depth=3
	v_cmp_ne_u32_e32 vcc, -1, v15
                                        ; implicit-def: $sgpr36_sgpr37
                                        ; implicit-def: $sgpr0_sgpr1
	s_and_saveexec_b64 s[38:39], vcc
	s_xor_b64 s[38:39], exec, s[38:39]
; %bb.16:                               ;   in Loop: Header=BB3_14 Depth=3
	v_add_u32_e32 v13, 1, v13
	v_and_b32_e32 v13, 31, v13
	s_mov_b64 s[0:1], -1
	s_and_b64 s[36:37], s[30:31], exec
                                        ; implicit-def: $vgpr14
; %bb.17:                               ;   in Loop: Header=BB3_14 Depth=3
	s_andn2_saveexec_b64 s[38:39], s[38:39]
	s_cbranch_execz .LBB3_12
; %bb.18:                               ;   in Loop: Header=BB3_14 Depth=3
	ds_cmpst_rtn_b32 v14, v14, v12, v5
	s_andn2_b64 s[40:41], s[0:1], exec
	s_andn2_b64 s[36:37], s[36:37], exec
	s_waitcnt lgkmcnt(0)
	v_cmp_eq_u32_e64 s[0:1], -1, v14
	v_cmp_ne_u32_e32 vcc, -1, v14
	s_or_b64 s[30:31], s[0:1], s[30:31]
	s_and_b64 s[0:1], vcc, exec
	s_and_b64 s[30:31], s[30:31], exec
	s_or_b64 s[0:1], s[40:41], s[0:1]
	s_or_b64 s[36:37], s[36:37], s[30:31]
	s_branch .LBB3_12
.LBB3_19:
	s_or_b64 exec, exec, s[16:17]
.LBB3_20:
	s_or_b64 exec, exec, s[2:3]
.LBB3_21:
	s_load_dword s0, s[4:5], 0x5c
	s_waitcnt lgkmcnt(0)
	s_bfe_u32 s0, s0, 0x10008
	s_cmp_eq_u32 s0, 0
	s_cbranch_scc1 .LBB3_35
; %bb.22:
	s_load_dwordx2 s[0:1], s[4:5], 0x38
	v_lshlrev_b64 v[2:3], 2, v[0:1]
	v_subrev_u32_e32 v5, s10, v6
	s_waitcnt lgkmcnt(0)
	v_mov_b32_e32 v4, s1
	v_add_co_u32_e32 v2, vcc, s0, v2
	v_addc_co_u32_e32 v3, vcc, v4, v3, vcc
	global_load_dwordx2 v[2:3], v[2:3], off
	s_waitcnt vmcnt(0)
	v_subrev_u32_e32 v4, s10, v3
	v_add_u32_e32 v2, v5, v2
	v_cmp_lt_i32_e32 vcc, v2, v4
	s_and_saveexec_b64 s[2:3], vcc
	s_cbranch_execz .LBB3_34
; %bb.23:
	s_load_dwordx2 s[6:7], s[4:5], 0x40
	s_mov_b64 s[8:9], 0
	v_mov_b32_e32 v9, -1
	s_waitcnt lgkmcnt(0)
	v_mov_b32_e32 v5, s7
	s_branch .LBB3_25
.LBB3_24:                               ;   in Loop: Header=BB3_25 Depth=1
	s_or_b64 exec, exec, s[18:19]
	v_add_u32_e32 v2, 4, v2
	v_cndmask_b32_e64 v3, 0, 1, s[12:13]
	v_cmp_ge_i32_e32 vcc, v2, v4
	s_or_b64 s[8:9], vcc, s[8:9]
	v_add_u32_e32 v8, v8, v3
	s_andn2_b64 exec, exec, s[8:9]
	s_cbranch_execz .LBB3_33
.LBB3_25:                               ; =>This Loop Header: Depth=1
                                        ;     Child Loop BB3_28 Depth 2
	v_ashrrev_i32_e32 v3, 31, v2
	v_lshlrev_b64 v[10:11], 2, v[2:3]
	v_add_co_u32_e32 v10, vcc, s6, v10
	v_addc_co_u32_e32 v11, vcc, v5, v11, vcc
	global_load_dword v3, v[10:11], off
	s_mov_b64 s[18:19], 0
                                        ; implicit-def: $sgpr12_sgpr13
                                        ; implicit-def: $sgpr14_sgpr15
                                        ; implicit-def: $sgpr16_sgpr17
                                        ; implicit-def: $sgpr20_sgpr21
	s_waitcnt vmcnt(0)
	v_subrev_u32_e32 v3, s10, v3
	v_mul_lo_u32 v10, v3, 15
	v_and_b32_e32 v10, 31, v10
	s_branch .LBB3_28
.LBB3_26:                               ;   in Loop: Header=BB3_28 Depth=2
	s_or_b64 exec, exec, s[26:27]
	s_andn2_b64 s[16:17], s[16:17], exec
	s_and_b64 s[20:21], s[24:25], exec
	s_andn2_b64 s[14:15], s[14:15], exec
	s_and_b64 s[0:1], s[0:1], exec
	s_or_b64 s[16:17], s[16:17], s[20:21]
	s_or_b64 s[14:15], s[14:15], s[0:1]
                                        ; implicit-def: $sgpr20_sgpr21
.LBB3_27:                               ;   in Loop: Header=BB3_28 Depth=2
	s_or_b64 exec, exec, s[22:23]
	s_xor_b64 s[0:1], s[14:15], -1
	s_and_b64 s[0:1], exec, s[0:1]
	s_or_b64 s[18:19], s[0:1], s[18:19]
	s_andn2_b64 s[0:1], s[20:21], exec
	s_and_b64 s[22:23], s[16:17], exec
	s_or_b64 s[20:21], s[0:1], s[22:23]
	s_andn2_b64 s[0:1], s[12:13], exec
	s_or_b64 s[12:13], s[0:1], s[22:23]
	s_andn2_b64 exec, exec, s[18:19]
	s_cbranch_execz .LBB3_24
.LBB3_28:                               ;   Parent Loop BB3_25 Depth=1
                                        ; =>  This Inner Loop Header: Depth=2
	v_lshl_add_u32 v11, v10, 2, v7
	ds_read_b32 v12, v11
	s_andn2_b64 s[16:17], s[16:17], exec
	s_andn2_b64 s[14:15], s[14:15], exec
	s_waitcnt lgkmcnt(0)
	v_cmp_ne_u32_e32 vcc, v12, v3
	s_and_saveexec_b64 s[22:23], vcc
	s_cbranch_execz .LBB3_27
; %bb.29:                               ;   in Loop: Header=BB3_28 Depth=2
	v_cmp_ne_u32_e32 vcc, -1, v12
                                        ; implicit-def: $sgpr24_sgpr25
                                        ; implicit-def: $sgpr0_sgpr1
	s_and_saveexec_b64 s[26:27], vcc
	s_xor_b64 s[26:27], exec, s[26:27]
; %bb.30:                               ;   in Loop: Header=BB3_28 Depth=2
	v_add_u32_e32 v10, 1, v10
	v_and_b32_e32 v10, 31, v10
	s_mov_b64 s[0:1], -1
	s_and_b64 s[24:25], s[20:21], exec
                                        ; implicit-def: $vgpr11
; %bb.31:                               ;   in Loop: Header=BB3_28 Depth=2
	s_andn2_saveexec_b64 s[26:27], s[26:27]
	s_cbranch_execz .LBB3_26
; %bb.32:                               ;   in Loop: Header=BB3_28 Depth=2
	ds_cmpst_rtn_b32 v11, v11, v9, v3
	s_andn2_b64 s[28:29], s[0:1], exec
	s_andn2_b64 s[24:25], s[24:25], exec
	s_waitcnt lgkmcnt(0)
	v_cmp_eq_u32_e64 s[0:1], -1, v11
	v_cmp_ne_u32_e32 vcc, -1, v11
	s_or_b64 s[20:21], s[0:1], s[20:21]
	s_and_b64 s[0:1], vcc, exec
	s_and_b64 s[20:21], s[20:21], exec
	s_or_b64 s[0:1], s[28:29], s[0:1]
	s_or_b64 s[24:25], s[24:25], s[20:21]
	s_branch .LBB3_26
.LBB3_33:
	s_or_b64 exec, exec, s[8:9]
.LBB3_34:
	s_or_b64 exec, exec, s[2:3]
.LBB3_35:
	v_mov_b32_dpp v2, v8 row_shr:1 row_mask:0xf bank_mask:0xf
	v_add_u32_e32 v2, v2, v8
	v_cmp_eq_u32_e32 vcc, 3, v6
	s_nop 0
	v_mov_b32_dpp v3, v2 row_shr:2 row_mask:0xf bank_mask:0xf
	s_and_b64 exec, exec, vcc
	s_cbranch_execz .LBB3_37
; %bb.36:
	s_load_dwordx2 s[0:1], s[4:5], 0x48
	v_lshlrev_b64 v[0:1], 2, v[0:1]
	v_add_u32_e32 v2, v2, v3
	s_waitcnt lgkmcnt(0)
	v_mov_b32_e32 v4, s1
	v_add_co_u32_e32 v0, vcc, s0, v0
	v_addc_co_u32_e32 v1, vcc, v4, v1, vcc
	global_store_dword v[0:1], v2, off
.LBB3_37:
	s_endpgm
	.section	.rodata,"a",@progbits
	.p2align	6, 0x0
	.amdhsa_kernel _ZN9rocsparseL22csrgemm_nnz_wf_per_rowILj128ELj4ELj32ELj79EiiEEvT4_PKS1_S3_PKT3_S3_S6_S3_S6_S3_PS4_21rocsparse_index_base_S8_S8_bb
		.amdhsa_group_segment_fixed_size 4096
		.amdhsa_private_segment_fixed_size 0
		.amdhsa_kernarg_size 96
		.amdhsa_user_sgpr_count 6
		.amdhsa_user_sgpr_private_segment_buffer 1
		.amdhsa_user_sgpr_dispatch_ptr 0
		.amdhsa_user_sgpr_queue_ptr 0
		.amdhsa_user_sgpr_kernarg_segment_ptr 1
		.amdhsa_user_sgpr_dispatch_id 0
		.amdhsa_user_sgpr_flat_scratch_init 0
		.amdhsa_user_sgpr_kernarg_preload_length 0
		.amdhsa_user_sgpr_kernarg_preload_offset 0
		.amdhsa_user_sgpr_private_segment_size 0
		.amdhsa_uses_dynamic_stack 0
		.amdhsa_system_sgpr_private_segment_wavefront_offset 0
		.amdhsa_system_sgpr_workgroup_id_x 1
		.amdhsa_system_sgpr_workgroup_id_y 0
		.amdhsa_system_sgpr_workgroup_id_z 0
		.amdhsa_system_sgpr_workgroup_info 0
		.amdhsa_system_vgpr_workitem_id 0
		.amdhsa_next_free_vgpr 16
		.amdhsa_next_free_sgpr 42
		.amdhsa_accum_offset 16
		.amdhsa_reserve_vcc 1
		.amdhsa_reserve_flat_scratch 0
		.amdhsa_float_round_mode_32 0
		.amdhsa_float_round_mode_16_64 0
		.amdhsa_float_denorm_mode_32 3
		.amdhsa_float_denorm_mode_16_64 3
		.amdhsa_dx10_clamp 1
		.amdhsa_ieee_mode 1
		.amdhsa_fp16_overflow 0
		.amdhsa_tg_split 0
		.amdhsa_exception_fp_ieee_invalid_op 0
		.amdhsa_exception_fp_denorm_src 0
		.amdhsa_exception_fp_ieee_div_zero 0
		.amdhsa_exception_fp_ieee_overflow 0
		.amdhsa_exception_fp_ieee_underflow 0
		.amdhsa_exception_fp_ieee_inexact 0
		.amdhsa_exception_int_div_zero 0
	.end_amdhsa_kernel
	.section	.text._ZN9rocsparseL22csrgemm_nnz_wf_per_rowILj128ELj4ELj32ELj79EiiEEvT4_PKS1_S3_PKT3_S3_S6_S3_S6_S3_PS4_21rocsparse_index_base_S8_S8_bb,"axG",@progbits,_ZN9rocsparseL22csrgemm_nnz_wf_per_rowILj128ELj4ELj32ELj79EiiEEvT4_PKS1_S3_PKT3_S3_S6_S3_S6_S3_PS4_21rocsparse_index_base_S8_S8_bb,comdat
.Lfunc_end3:
	.size	_ZN9rocsparseL22csrgemm_nnz_wf_per_rowILj128ELj4ELj32ELj79EiiEEvT4_PKS1_S3_PKT3_S3_S6_S3_S6_S3_PS4_21rocsparse_index_base_S8_S8_bb, .Lfunc_end3-_ZN9rocsparseL22csrgemm_nnz_wf_per_rowILj128ELj4ELj32ELj79EiiEEvT4_PKS1_S3_PKT3_S3_S6_S3_S6_S3_PS4_21rocsparse_index_base_S8_S8_bb
                                        ; -- End function
	.section	.AMDGPU.csdata,"",@progbits
; Kernel info:
; codeLenInByte = 1272
; NumSgprs: 46
; NumVgprs: 16
; NumAgprs: 0
; TotalNumVgprs: 16
; ScratchSize: 0
; MemoryBound: 0
; FloatMode: 240
; IeeeMode: 1
; LDSByteSize: 4096 bytes/workgroup (compile time only)
; SGPRBlocks: 5
; VGPRBlocks: 1
; NumSGPRsForWavesPerEU: 46
; NumVGPRsForWavesPerEU: 16
; AccumOffset: 16
; Occupancy: 8
; WaveLimiterHint : 1
; COMPUTE_PGM_RSRC2:SCRATCH_EN: 0
; COMPUTE_PGM_RSRC2:USER_SGPR: 6
; COMPUTE_PGM_RSRC2:TRAP_HANDLER: 0
; COMPUTE_PGM_RSRC2:TGID_X_EN: 1
; COMPUTE_PGM_RSRC2:TGID_Y_EN: 0
; COMPUTE_PGM_RSRC2:TGID_Z_EN: 0
; COMPUTE_PGM_RSRC2:TIDIG_COMP_CNT: 0
; COMPUTE_PGM_RSRC3_GFX90A:ACCUM_OFFSET: 3
; COMPUTE_PGM_RSRC3_GFX90A:TG_SPLIT: 0
	.section	.text._ZN9rocsparseL22csrgemm_nnz_wf_per_rowILj256ELj8ELj64ELj79EiiEEvT4_PKS1_S3_PKT3_S3_S6_S3_S6_S3_PS4_21rocsparse_index_base_S8_S8_bb,"axG",@progbits,_ZN9rocsparseL22csrgemm_nnz_wf_per_rowILj256ELj8ELj64ELj79EiiEEvT4_PKS1_S3_PKT3_S3_S6_S3_S6_S3_PS4_21rocsparse_index_base_S8_S8_bb,comdat
	.globl	_ZN9rocsparseL22csrgemm_nnz_wf_per_rowILj256ELj8ELj64ELj79EiiEEvT4_PKS1_S3_PKT3_S3_S6_S3_S6_S3_PS4_21rocsparse_index_base_S8_S8_bb ; -- Begin function _ZN9rocsparseL22csrgemm_nnz_wf_per_rowILj256ELj8ELj64ELj79EiiEEvT4_PKS1_S3_PKT3_S3_S6_S3_S6_S3_PS4_21rocsparse_index_base_S8_S8_bb
	.p2align	8
	.type	_ZN9rocsparseL22csrgemm_nnz_wf_per_rowILj256ELj8ELj64ELj79EiiEEvT4_PKS1_S3_PKT3_S3_S6_S3_S6_S3_PS4_21rocsparse_index_base_S8_S8_bb,@function
_ZN9rocsparseL22csrgemm_nnz_wf_per_rowILj256ELj8ELj64ELj79EiiEEvT4_PKS1_S3_PKT3_S3_S6_S3_S6_S3_PS4_21rocsparse_index_base_S8_S8_bb: ; @_ZN9rocsparseL22csrgemm_nnz_wf_per_rowILj256ELj8ELj64ELj79EiiEEvT4_PKS1_S3_PKT3_S3_S6_S3_S6_S3_PS4_21rocsparse_index_base_S8_S8_bb
; %bb.0:
	s_load_dword s0, s[4:5], 0x0
	s_lshl_b32 s1, s6, 5
	v_and_b32_e32 v6, 7, v0
	v_lshrrev_b32_e32 v0, 3, v0
	s_and_b32 s1, s1, 0x1fffffe0
	v_lshlrev_b32_e32 v7, 8, v0
	v_or_b32_e32 v0, s1, v0
	v_lshl_or_b32 v1, v6, 2, v7
	v_mov_b32_e32 v2, -1
	s_waitcnt lgkmcnt(0)
	v_cmp_gt_i32_e32 vcc, s0, v0
	ds_write2_b32 v1, v2, v2 offset1:8
	ds_write2_b32 v1, v2, v2 offset0:16 offset1:24
	ds_write2_b32 v1, v2, v2 offset0:32 offset1:40
	;; [unrolled: 1-line block ×3, first 2 shown]
	s_waitcnt lgkmcnt(0)
	s_and_saveexec_b64 s[0:1], vcc
	s_cbranch_execz .LBB4_37
; %bb.1:
	s_load_dwordx2 s[0:1], s[4:5], 0x10
	s_waitcnt lgkmcnt(0)
	s_cmp_eq_u64 s[0:1], 0
	s_cbranch_scc1 .LBB4_3
; %bb.2:
	s_load_dwordx2 s[2:3], s[4:5], 0x8
	v_mov_b32_e32 v2, s1
	s_waitcnt lgkmcnt(0)
	s_load_dword s2, s[2:3], 0x0
	s_waitcnt lgkmcnt(0)
	v_add_u32_e32 v0, s2, v0
	v_ashrrev_i32_e32 v1, 31, v0
	v_lshlrev_b64 v[0:1], 2, v[0:1]
	v_add_co_u32_e32 v0, vcc, s0, v0
	v_addc_co_u32_e32 v1, vcc, v2, v1, vcc
	global_load_dword v0, v[0:1], off
.LBB4_3:
	s_load_dwordx4 s[8:11], s[4:5], 0x50
	v_mov_b32_e32 v8, 0
	s_waitcnt vmcnt(0)
	v_ashrrev_i32_e32 v1, 31, v0
	s_waitcnt lgkmcnt(0)
	s_bitcmp0_b32 s11, 0
	s_cbranch_scc1 .LBB4_21
; %bb.4:
	s_load_dwordx2 s[0:1], s[4:5], 0x18
	v_lshlrev_b64 v[2:3], 2, v[0:1]
	v_mov_b32_e32 v8, 0
	s_waitcnt lgkmcnt(0)
	v_mov_b32_e32 v4, s1
	v_add_co_u32_e32 v2, vcc, s0, v2
	v_addc_co_u32_e32 v3, vcc, v4, v3, vcc
	global_load_dwordx2 v[2:3], v[2:3], off
	v_subrev_u32_e32 v4, s8, v6
	s_waitcnt vmcnt(0)
	v_subrev_u32_e32 v9, s8, v3
	v_add_u32_e32 v2, v4, v2
	v_cmp_lt_i32_e32 vcc, v2, v9
	s_and_saveexec_b64 s[2:3], vcc
	s_cbranch_execz .LBB4_20
; %bb.5:
	s_load_dwordx4 s[12:15], s[4:5], 0x20
	s_load_dwordx2 s[6:7], s[4:5], 0x30
	s_mov_b64 s[16:17], 0
	v_mov_b32_e32 v8, 0
	v_mov_b32_e32 v12, -1
	s_waitcnt lgkmcnt(0)
	v_mov_b32_e32 v10, s13
	v_mov_b32_e32 v11, s15
	s_branch .LBB4_8
.LBB4_6:                                ;   in Loop: Header=BB4_8 Depth=1
	s_or_b64 exec, exec, s[20:21]
.LBB4_7:                                ;   in Loop: Header=BB4_8 Depth=1
	s_or_b64 exec, exec, s[18:19]
	v_add_u32_e32 v2, 8, v2
	v_cmp_ge_i32_e32 vcc, v2, v9
	s_or_b64 s[16:17], vcc, s[16:17]
	s_andn2_b64 exec, exec, s[16:17]
	s_cbranch_execz .LBB4_19
.LBB4_8:                                ; =>This Loop Header: Depth=1
                                        ;     Child Loop BB4_11 Depth 2
                                        ;       Child Loop BB4_14 Depth 3
	v_ashrrev_i32_e32 v3, 31, v2
	v_lshlrev_b64 v[4:5], 2, v[2:3]
	v_add_co_u32_e32 v4, vcc, s12, v4
	v_addc_co_u32_e32 v5, vcc, v10, v5, vcc
	global_load_dword v3, v[4:5], off
	s_waitcnt vmcnt(0)
	v_subrev_u32_e32 v4, s8, v3
	v_ashrrev_i32_e32 v5, 31, v4
	v_lshlrev_b64 v[4:5], 2, v[4:5]
	v_add_co_u32_e32 v4, vcc, s14, v4
	v_addc_co_u32_e32 v5, vcc, v11, v5, vcc
	global_load_dwordx2 v[4:5], v[4:5], off
	s_waitcnt vmcnt(0)
	v_cmp_lt_i32_e32 vcc, v4, v5
	s_and_saveexec_b64 s[18:19], vcc
	s_cbranch_execz .LBB4_7
; %bb.9:                                ;   in Loop: Header=BB4_8 Depth=1
	v_subrev_u32_e32 v3, s9, v5
	v_subrev_u32_e32 v4, s9, v4
	s_mov_b64 s[20:21], 0
	s_branch .LBB4_11
.LBB4_10:                               ;   in Loop: Header=BB4_11 Depth=2
	s_or_b64 exec, exec, s[28:29]
	v_add_u32_e32 v4, 1, v4
	v_cndmask_b32_e64 v5, 0, 1, s[22:23]
	v_cmp_ge_i32_e32 vcc, v4, v3
	s_or_b64 s[20:21], vcc, s[20:21]
	v_add_u32_e32 v8, v8, v5
	s_andn2_b64 exec, exec, s[20:21]
	s_cbranch_execz .LBB4_6
.LBB4_11:                               ;   Parent Loop BB4_8 Depth=1
                                        ; =>  This Loop Header: Depth=2
                                        ;       Child Loop BB4_14 Depth 3
	v_ashrrev_i32_e32 v5, 31, v4
	v_lshlrev_b64 v[14:15], 2, v[4:5]
	v_mov_b32_e32 v5, s7
	v_add_co_u32_e32 v14, vcc, s6, v14
	v_addc_co_u32_e32 v15, vcc, v5, v15, vcc
	global_load_dword v5, v[14:15], off
	s_mov_b64 s[28:29], 0
                                        ; implicit-def: $sgpr22_sgpr23
                                        ; implicit-def: $sgpr24_sgpr25
                                        ; implicit-def: $sgpr26_sgpr27
                                        ; implicit-def: $sgpr30_sgpr31
	s_waitcnt vmcnt(0)
	v_subrev_u32_e32 v5, s9, v5
	v_mul_lo_u32 v13, v5, 15
	v_and_b32_e32 v13, 63, v13
	s_branch .LBB4_14
.LBB4_12:                               ;   in Loop: Header=BB4_14 Depth=3
	s_or_b64 exec, exec, s[38:39]
	s_andn2_b64 s[26:27], s[26:27], exec
	s_and_b64 s[30:31], s[36:37], exec
	s_andn2_b64 s[24:25], s[24:25], exec
	s_and_b64 s[0:1], s[0:1], exec
	s_or_b64 s[26:27], s[26:27], s[30:31]
	s_or_b64 s[24:25], s[24:25], s[0:1]
                                        ; implicit-def: $sgpr30_sgpr31
.LBB4_13:                               ;   in Loop: Header=BB4_14 Depth=3
	s_or_b64 exec, exec, s[34:35]
	s_xor_b64 s[0:1], s[24:25], -1
	s_and_b64 s[0:1], exec, s[0:1]
	s_or_b64 s[28:29], s[0:1], s[28:29]
	s_andn2_b64 s[0:1], s[30:31], exec
	s_and_b64 s[34:35], s[26:27], exec
	s_or_b64 s[30:31], s[0:1], s[34:35]
	s_andn2_b64 s[0:1], s[22:23], exec
	s_or_b64 s[22:23], s[0:1], s[34:35]
	s_andn2_b64 exec, exec, s[28:29]
	s_cbranch_execz .LBB4_10
.LBB4_14:                               ;   Parent Loop BB4_8 Depth=1
                                        ;     Parent Loop BB4_11 Depth=2
                                        ; =>    This Inner Loop Header: Depth=3
	v_lshl_add_u32 v14, v13, 2, v7
	ds_read_b32 v15, v14
	s_andn2_b64 s[26:27], s[26:27], exec
	s_andn2_b64 s[24:25], s[24:25], exec
	s_waitcnt lgkmcnt(0)
	v_cmp_ne_u32_e32 vcc, v15, v5
	s_and_saveexec_b64 s[34:35], vcc
	s_cbranch_execz .LBB4_13
; %bb.15:                               ;   in Loop: Header=BB4_14 Depth=3
	v_cmp_ne_u32_e32 vcc, -1, v15
                                        ; implicit-def: $sgpr36_sgpr37
                                        ; implicit-def: $sgpr0_sgpr1
	s_and_saveexec_b64 s[38:39], vcc
	s_xor_b64 s[38:39], exec, s[38:39]
; %bb.16:                               ;   in Loop: Header=BB4_14 Depth=3
	v_add_u32_e32 v13, 1, v13
	v_and_b32_e32 v13, 63, v13
	s_mov_b64 s[0:1], -1
	s_and_b64 s[36:37], s[30:31], exec
                                        ; implicit-def: $vgpr14
; %bb.17:                               ;   in Loop: Header=BB4_14 Depth=3
	s_andn2_saveexec_b64 s[38:39], s[38:39]
	s_cbranch_execz .LBB4_12
; %bb.18:                               ;   in Loop: Header=BB4_14 Depth=3
	ds_cmpst_rtn_b32 v14, v14, v12, v5
	s_andn2_b64 s[40:41], s[0:1], exec
	s_andn2_b64 s[36:37], s[36:37], exec
	s_waitcnt lgkmcnt(0)
	v_cmp_eq_u32_e64 s[0:1], -1, v14
	v_cmp_ne_u32_e32 vcc, -1, v14
	s_or_b64 s[30:31], s[0:1], s[30:31]
	s_and_b64 s[0:1], vcc, exec
	s_and_b64 s[30:31], s[30:31], exec
	s_or_b64 s[0:1], s[40:41], s[0:1]
	s_or_b64 s[36:37], s[36:37], s[30:31]
	s_branch .LBB4_12
.LBB4_19:
	s_or_b64 exec, exec, s[16:17]
.LBB4_20:
	s_or_b64 exec, exec, s[2:3]
.LBB4_21:
	s_load_dword s0, s[4:5], 0x5c
	s_waitcnt lgkmcnt(0)
	s_bfe_u32 s0, s0, 0x10008
	s_cmp_eq_u32 s0, 0
	s_cbranch_scc1 .LBB4_35
; %bb.22:
	s_load_dwordx2 s[0:1], s[4:5], 0x38
	v_lshlrev_b64 v[2:3], 2, v[0:1]
	v_subrev_u32_e32 v5, s10, v6
	s_waitcnt lgkmcnt(0)
	v_mov_b32_e32 v4, s1
	v_add_co_u32_e32 v2, vcc, s0, v2
	v_addc_co_u32_e32 v3, vcc, v4, v3, vcc
	global_load_dwordx2 v[2:3], v[2:3], off
	s_waitcnt vmcnt(0)
	v_subrev_u32_e32 v4, s10, v3
	v_add_u32_e32 v2, v5, v2
	v_cmp_lt_i32_e32 vcc, v2, v4
	s_and_saveexec_b64 s[2:3], vcc
	s_cbranch_execz .LBB4_34
; %bb.23:
	s_load_dwordx2 s[6:7], s[4:5], 0x40
	s_mov_b64 s[8:9], 0
	v_mov_b32_e32 v9, -1
	s_waitcnt lgkmcnt(0)
	v_mov_b32_e32 v5, s7
	s_branch .LBB4_25
.LBB4_24:                               ;   in Loop: Header=BB4_25 Depth=1
	s_or_b64 exec, exec, s[18:19]
	v_add_u32_e32 v2, 8, v2
	v_cndmask_b32_e64 v3, 0, 1, s[12:13]
	v_cmp_ge_i32_e32 vcc, v2, v4
	s_or_b64 s[8:9], vcc, s[8:9]
	v_add_u32_e32 v8, v8, v3
	s_andn2_b64 exec, exec, s[8:9]
	s_cbranch_execz .LBB4_33
.LBB4_25:                               ; =>This Loop Header: Depth=1
                                        ;     Child Loop BB4_28 Depth 2
	v_ashrrev_i32_e32 v3, 31, v2
	v_lshlrev_b64 v[10:11], 2, v[2:3]
	v_add_co_u32_e32 v10, vcc, s6, v10
	v_addc_co_u32_e32 v11, vcc, v5, v11, vcc
	global_load_dword v3, v[10:11], off
	s_mov_b64 s[18:19], 0
                                        ; implicit-def: $sgpr12_sgpr13
                                        ; implicit-def: $sgpr14_sgpr15
                                        ; implicit-def: $sgpr16_sgpr17
                                        ; implicit-def: $sgpr20_sgpr21
	s_waitcnt vmcnt(0)
	v_subrev_u32_e32 v3, s10, v3
	v_mul_lo_u32 v10, v3, 15
	v_and_b32_e32 v10, 63, v10
	s_branch .LBB4_28
.LBB4_26:                               ;   in Loop: Header=BB4_28 Depth=2
	s_or_b64 exec, exec, s[26:27]
	s_andn2_b64 s[16:17], s[16:17], exec
	s_and_b64 s[20:21], s[24:25], exec
	s_andn2_b64 s[14:15], s[14:15], exec
	s_and_b64 s[0:1], s[0:1], exec
	s_or_b64 s[16:17], s[16:17], s[20:21]
	s_or_b64 s[14:15], s[14:15], s[0:1]
                                        ; implicit-def: $sgpr20_sgpr21
.LBB4_27:                               ;   in Loop: Header=BB4_28 Depth=2
	s_or_b64 exec, exec, s[22:23]
	s_xor_b64 s[0:1], s[14:15], -1
	s_and_b64 s[0:1], exec, s[0:1]
	s_or_b64 s[18:19], s[0:1], s[18:19]
	s_andn2_b64 s[0:1], s[20:21], exec
	s_and_b64 s[22:23], s[16:17], exec
	s_or_b64 s[20:21], s[0:1], s[22:23]
	s_andn2_b64 s[0:1], s[12:13], exec
	s_or_b64 s[12:13], s[0:1], s[22:23]
	s_andn2_b64 exec, exec, s[18:19]
	s_cbranch_execz .LBB4_24
.LBB4_28:                               ;   Parent Loop BB4_25 Depth=1
                                        ; =>  This Inner Loop Header: Depth=2
	v_lshl_add_u32 v11, v10, 2, v7
	ds_read_b32 v12, v11
	s_andn2_b64 s[16:17], s[16:17], exec
	s_andn2_b64 s[14:15], s[14:15], exec
	s_waitcnt lgkmcnt(0)
	v_cmp_ne_u32_e32 vcc, v12, v3
	s_and_saveexec_b64 s[22:23], vcc
	s_cbranch_execz .LBB4_27
; %bb.29:                               ;   in Loop: Header=BB4_28 Depth=2
	v_cmp_ne_u32_e32 vcc, -1, v12
                                        ; implicit-def: $sgpr24_sgpr25
                                        ; implicit-def: $sgpr0_sgpr1
	s_and_saveexec_b64 s[26:27], vcc
	s_xor_b64 s[26:27], exec, s[26:27]
; %bb.30:                               ;   in Loop: Header=BB4_28 Depth=2
	v_add_u32_e32 v10, 1, v10
	v_and_b32_e32 v10, 63, v10
	s_mov_b64 s[0:1], -1
	s_and_b64 s[24:25], s[20:21], exec
                                        ; implicit-def: $vgpr11
; %bb.31:                               ;   in Loop: Header=BB4_28 Depth=2
	s_andn2_saveexec_b64 s[26:27], s[26:27]
	s_cbranch_execz .LBB4_26
; %bb.32:                               ;   in Loop: Header=BB4_28 Depth=2
	ds_cmpst_rtn_b32 v11, v11, v9, v3
	s_andn2_b64 s[28:29], s[0:1], exec
	s_andn2_b64 s[24:25], s[24:25], exec
	s_waitcnt lgkmcnt(0)
	v_cmp_eq_u32_e64 s[0:1], -1, v11
	v_cmp_ne_u32_e32 vcc, -1, v11
	s_or_b64 s[20:21], s[0:1], s[20:21]
	s_and_b64 s[0:1], vcc, exec
	s_and_b64 s[20:21], s[20:21], exec
	s_or_b64 s[0:1], s[28:29], s[0:1]
	s_or_b64 s[24:25], s[24:25], s[20:21]
	s_branch .LBB4_26
.LBB4_33:
	s_or_b64 exec, exec, s[8:9]
.LBB4_34:
	s_or_b64 exec, exec, s[2:3]
.LBB4_35:
	v_mov_b32_dpp v2, v8 row_shr:1 row_mask:0xf bank_mask:0xf
	v_add_u32_e32 v2, v2, v8
	v_cmp_eq_u32_e32 vcc, 7, v6
	s_nop 0
	v_mov_b32_dpp v3, v2 row_shr:2 row_mask:0xf bank_mask:0xf
	v_add_u32_e32 v2, v2, v3
	s_nop 1
	v_mov_b32_dpp v3, v2 row_shr:4 row_mask:0xf bank_mask:0xe
	s_and_b64 exec, exec, vcc
	s_cbranch_execz .LBB4_37
; %bb.36:
	s_load_dwordx2 s[0:1], s[4:5], 0x48
	v_lshlrev_b64 v[0:1], 2, v[0:1]
	v_add_u32_e32 v2, v2, v3
	s_waitcnt lgkmcnt(0)
	v_mov_b32_e32 v4, s1
	v_add_co_u32_e32 v0, vcc, s0, v0
	v_addc_co_u32_e32 v1, vcc, v4, v1, vcc
	global_store_dword v[0:1], v2, off
.LBB4_37:
	s_endpgm
	.section	.rodata,"a",@progbits
	.p2align	6, 0x0
	.amdhsa_kernel _ZN9rocsparseL22csrgemm_nnz_wf_per_rowILj256ELj8ELj64ELj79EiiEEvT4_PKS1_S3_PKT3_S3_S6_S3_S6_S3_PS4_21rocsparse_index_base_S8_S8_bb
		.amdhsa_group_segment_fixed_size 8192
		.amdhsa_private_segment_fixed_size 0
		.amdhsa_kernarg_size 96
		.amdhsa_user_sgpr_count 6
		.amdhsa_user_sgpr_private_segment_buffer 1
		.amdhsa_user_sgpr_dispatch_ptr 0
		.amdhsa_user_sgpr_queue_ptr 0
		.amdhsa_user_sgpr_kernarg_segment_ptr 1
		.amdhsa_user_sgpr_dispatch_id 0
		.amdhsa_user_sgpr_flat_scratch_init 0
		.amdhsa_user_sgpr_kernarg_preload_length 0
		.amdhsa_user_sgpr_kernarg_preload_offset 0
		.amdhsa_user_sgpr_private_segment_size 0
		.amdhsa_uses_dynamic_stack 0
		.amdhsa_system_sgpr_private_segment_wavefront_offset 0
		.amdhsa_system_sgpr_workgroup_id_x 1
		.amdhsa_system_sgpr_workgroup_id_y 0
		.amdhsa_system_sgpr_workgroup_id_z 0
		.amdhsa_system_sgpr_workgroup_info 0
		.amdhsa_system_vgpr_workitem_id 0
		.amdhsa_next_free_vgpr 16
		.amdhsa_next_free_sgpr 42
		.amdhsa_accum_offset 16
		.amdhsa_reserve_vcc 1
		.amdhsa_reserve_flat_scratch 0
		.amdhsa_float_round_mode_32 0
		.amdhsa_float_round_mode_16_64 0
		.amdhsa_float_denorm_mode_32 3
		.amdhsa_float_denorm_mode_16_64 3
		.amdhsa_dx10_clamp 1
		.amdhsa_ieee_mode 1
		.amdhsa_fp16_overflow 0
		.amdhsa_tg_split 0
		.amdhsa_exception_fp_ieee_invalid_op 0
		.amdhsa_exception_fp_denorm_src 0
		.amdhsa_exception_fp_ieee_div_zero 0
		.amdhsa_exception_fp_ieee_overflow 0
		.amdhsa_exception_fp_ieee_underflow 0
		.amdhsa_exception_fp_ieee_inexact 0
		.amdhsa_exception_int_div_zero 0
	.end_amdhsa_kernel
	.section	.text._ZN9rocsparseL22csrgemm_nnz_wf_per_rowILj256ELj8ELj64ELj79EiiEEvT4_PKS1_S3_PKT3_S3_S6_S3_S6_S3_PS4_21rocsparse_index_base_S8_S8_bb,"axG",@progbits,_ZN9rocsparseL22csrgemm_nnz_wf_per_rowILj256ELj8ELj64ELj79EiiEEvT4_PKS1_S3_PKT3_S3_S6_S3_S6_S3_PS4_21rocsparse_index_base_S8_S8_bb,comdat
.Lfunc_end4:
	.size	_ZN9rocsparseL22csrgemm_nnz_wf_per_rowILj256ELj8ELj64ELj79EiiEEvT4_PKS1_S3_PKT3_S3_S6_S3_S6_S3_PS4_21rocsparse_index_base_S8_S8_bb, .Lfunc_end4-_ZN9rocsparseL22csrgemm_nnz_wf_per_rowILj256ELj8ELj64ELj79EiiEEvT4_PKS1_S3_PKT3_S3_S6_S3_S6_S3_PS4_21rocsparse_index_base_S8_S8_bb
                                        ; -- End function
	.section	.AMDGPU.csdata,"",@progbits
; Kernel info:
; codeLenInByte = 1288
; NumSgprs: 46
; NumVgprs: 16
; NumAgprs: 0
; TotalNumVgprs: 16
; ScratchSize: 0
; MemoryBound: 0
; FloatMode: 240
; IeeeMode: 1
; LDSByteSize: 8192 bytes/workgroup (compile time only)
; SGPRBlocks: 5
; VGPRBlocks: 1
; NumSGPRsForWavesPerEU: 46
; NumVGPRsForWavesPerEU: 16
; AccumOffset: 16
; Occupancy: 8
; WaveLimiterHint : 1
; COMPUTE_PGM_RSRC2:SCRATCH_EN: 0
; COMPUTE_PGM_RSRC2:USER_SGPR: 6
; COMPUTE_PGM_RSRC2:TRAP_HANDLER: 0
; COMPUTE_PGM_RSRC2:TGID_X_EN: 1
; COMPUTE_PGM_RSRC2:TGID_Y_EN: 0
; COMPUTE_PGM_RSRC2:TGID_Z_EN: 0
; COMPUTE_PGM_RSRC2:TIDIG_COMP_CNT: 0
; COMPUTE_PGM_RSRC3_GFX90A:ACCUM_OFFSET: 3
; COMPUTE_PGM_RSRC3_GFX90A:TG_SPLIT: 0
	.section	.text._ZN9rocsparseL25csrgemm_nnz_block_per_rowILj128ELj8ELj512ELj79EiiEEvPKT4_S3_PKT3_S3_S6_S3_S6_S3_PS4_21rocsparse_index_base_S8_S8_bb,"axG",@progbits,_ZN9rocsparseL25csrgemm_nnz_block_per_rowILj128ELj8ELj512ELj79EiiEEvPKT4_S3_PKT3_S3_S6_S3_S6_S3_PS4_21rocsparse_index_base_S8_S8_bb,comdat
	.globl	_ZN9rocsparseL25csrgemm_nnz_block_per_rowILj128ELj8ELj512ELj79EiiEEvPKT4_S3_PKT3_S3_S6_S3_S6_S3_PS4_21rocsparse_index_base_S8_S8_bb ; -- Begin function _ZN9rocsparseL25csrgemm_nnz_block_per_rowILj128ELj8ELj512ELj79EiiEEvPKT4_S3_PKT3_S3_S6_S3_S6_S3_PS4_21rocsparse_index_base_S8_S8_bb
	.p2align	8
	.type	_ZN9rocsparseL25csrgemm_nnz_block_per_rowILj128ELj8ELj512ELj79EiiEEvPKT4_S3_PKT3_S3_S6_S3_S6_S3_PS4_21rocsparse_index_base_S8_S8_bb,@function
_ZN9rocsparseL25csrgemm_nnz_block_per_rowILj128ELj8ELj512ELj79EiiEEvPKT4_S3_PKT3_S3_S6_S3_S6_S3_PS4_21rocsparse_index_base_S8_S8_bb: ; @_ZN9rocsparseL25csrgemm_nnz_block_per_rowILj128ELj8ELj512ELj79EiiEEvPKT4_S3_PKT3_S3_S6_S3_S6_S3_PS4_21rocsparse_index_base_S8_S8_bb
; %bb.0:
	s_load_dwordx8 s[16:23], s[4:5], 0x0
	s_mov_b32 s1, 0
	v_lshl_add_u32 v1, v0, 2, 0
	s_waitcnt lgkmcnt(0)
	s_load_dword s0, s[16:17], 0x0
	s_load_dwordx2 s[2:3], s[4:5], 0x40
	s_load_dwordx8 s[8:15], s[4:5], 0x20
	s_waitcnt lgkmcnt(0)
	s_add_i32 s0, s0, s6
	s_lshl_b64 s[6:7], s[0:1], 2
	s_add_u32 s6, s18, s6
	s_addc_u32 s7, s19, s7
	s_load_dword s6, s[6:7], 0x0
	s_movk_i32 s0, 0x200
	v_cmp_gt_u32_e32 vcc, s0, v0
	s_and_saveexec_b64 s[16:17], vcc
	s_cbranch_execz .LBB5_7
; %bb.1:
	s_mov_b64 s[18:19], 0
	v_mov_b32_e32 v2, -1
	v_mov_b32_e32 v3, v1
	s_branch .LBB5_3
.LBB5_2:                                ;   in Loop: Header=BB5_3 Depth=1
	s_or_b64 exec, exec, s[26:27]
	s_add_i32 s1, s1, 2
	v_cmp_eq_u32_e64 s[24:25], 4, s1
	s_or_b64 s[18:19], s[24:25], s[18:19]
	v_add_u32_e32 v3, 0x400, v3
	s_andn2_b64 exec, exec, s[18:19]
	s_cbranch_execz .LBB5_7
.LBB5_3:                                ; =>This Inner Loop Header: Depth=1
	s_or_b32 s0, s1, 1
	v_cmp_le_u32_e64 s[24:25], s0, 3
	v_cmp_le_u32_e64 s[28:29], s1, 3
	s_and_saveexec_b64 s[26:27], s[28:29]
	s_cbranch_execz .LBB5_5
; %bb.4:                                ;   in Loop: Header=BB5_3 Depth=1
	ds_write_b32 v3, v2
.LBB5_5:                                ;   in Loop: Header=BB5_3 Depth=1
	s_or_b64 exec, exec, s[26:27]
	s_and_saveexec_b64 s[26:27], s[24:25]
	s_cbranch_execz .LBB5_2
; %bb.6:                                ;   in Loop: Header=BB5_3 Depth=1
	ds_write_b32 v3, v2 offset:512
	s_branch .LBB5_2
.LBB5_7:
	s_or_b64 exec, exec, s[16:17]
	s_load_dwordx4 s[16:19], s[4:5], 0x48
	v_and_b32_e32 v7, 7, v0
	v_lshrrev_b32_e32 v6, 3, v0
	v_mov_b32_e32 v8, 0
	s_waitcnt lgkmcnt(0)
	s_bitcmp0_b32 s19, 0
	s_barrier
	s_cbranch_scc1 .LBB5_25
; %bb.8:
	s_ashr_i32 s7, s6, 31
	s_lshl_b64 s[0:1], s[6:7], 2
	s_add_u32 s0, s20, s0
	s_addc_u32 s1, s21, s1
	s_load_dwordx2 s[0:1], s[0:1], 0x0
	v_subrev_u32_e32 v2, s16, v6
	v_mov_b32_e32 v8, 0
	s_waitcnt lgkmcnt(0)
	s_sub_i32 s7, s1, s16
	v_add_u32_e32 v2, s0, v2
	v_cmp_gt_i32_e32 vcc, s7, v2
	s_and_saveexec_b64 s[20:21], vcc
	s_cbranch_execz .LBB5_24
; %bb.9:
	v_subrev_u32_e32 v9, s17, v7
	s_mov_b64 s[24:25], 0
	v_mov_b32_e32 v8, 0
	v_mov_b32_e32 v10, s23
	;; [unrolled: 1-line block ×3, first 2 shown]
	s_movk_i32 s9, 0x4f
	v_mov_b32_e32 v12, -1
	s_branch .LBB5_12
.LBB5_10:                               ;   in Loop: Header=BB5_12 Depth=1
	s_or_b64 exec, exec, s[28:29]
.LBB5_11:                               ;   in Loop: Header=BB5_12 Depth=1
	s_or_b64 exec, exec, s[26:27]
	v_add_u32_e32 v2, 16, v2
	v_cmp_le_i32_e32 vcc, s7, v2
	s_or_b64 s[24:25], vcc, s[24:25]
	s_andn2_b64 exec, exec, s[24:25]
	s_cbranch_execz .LBB5_23
.LBB5_12:                               ; =>This Loop Header: Depth=1
                                        ;     Child Loop BB5_15 Depth 2
                                        ;       Child Loop BB5_18 Depth 3
	v_ashrrev_i32_e32 v3, 31, v2
	v_lshlrev_b64 v[4:5], 2, v[2:3]
	v_add_co_u32_e32 v4, vcc, s22, v4
	v_addc_co_u32_e32 v5, vcc, v10, v5, vcc
	global_load_dword v3, v[4:5], off
	s_waitcnt vmcnt(0)
	v_subrev_u32_e32 v4, s16, v3
	v_ashrrev_i32_e32 v5, 31, v4
	v_lshlrev_b64 v[4:5], 2, v[4:5]
	v_add_co_u32_e32 v4, vcc, s8, v4
	v_addc_co_u32_e32 v5, vcc, v11, v5, vcc
	global_load_dwordx2 v[4:5], v[4:5], off
	s_waitcnt vmcnt(0)
	v_subrev_u32_e32 v3, s17, v5
	v_add_u32_e32 v4, v9, v4
	v_cmp_lt_i32_e32 vcc, v4, v3
	s_and_saveexec_b64 s[26:27], vcc
	s_cbranch_execz .LBB5_11
; %bb.13:                               ;   in Loop: Header=BB5_12 Depth=1
	s_mov_b64 s[28:29], 0
	s_branch .LBB5_15
.LBB5_14:                               ;   in Loop: Header=BB5_15 Depth=2
	s_or_b64 exec, exec, s[38:39]
	v_add_u32_e32 v4, 8, v4
	v_cndmask_b32_e64 v5, 0, 1, s[30:31]
	v_cmp_ge_i32_e32 vcc, v4, v3
	s_or_b64 s[28:29], vcc, s[28:29]
	v_add_u32_e32 v8, v8, v5
	s_andn2_b64 exec, exec, s[28:29]
	s_cbranch_execz .LBB5_10
.LBB5_15:                               ;   Parent Loop BB5_12 Depth=1
                                        ; =>  This Loop Header: Depth=2
                                        ;       Child Loop BB5_18 Depth 3
	v_ashrrev_i32_e32 v5, 31, v4
	v_lshlrev_b64 v[14:15], 2, v[4:5]
	v_mov_b32_e32 v5, s11
	v_add_co_u32_e32 v14, vcc, s10, v14
	v_addc_co_u32_e32 v15, vcc, v5, v15, vcc
	global_load_dword v5, v[14:15], off
	s_mov_b64 s[38:39], 0
                                        ; implicit-def: $sgpr30_sgpr31
                                        ; implicit-def: $sgpr34_sgpr35
                                        ; implicit-def: $sgpr36_sgpr37
                                        ; implicit-def: $sgpr40_sgpr41
	s_waitcnt vmcnt(0)
	v_subrev_u32_e32 v5, s17, v5
	v_mul_lo_u32 v13, v5, s9
	v_and_b32_e32 v13, 0x1ff, v13
	s_branch .LBB5_18
.LBB5_16:                               ;   in Loop: Header=BB5_18 Depth=3
	s_or_b64 exec, exec, s[46:47]
	s_andn2_b64 s[36:37], s[36:37], exec
	s_and_b64 s[40:41], s[44:45], exec
	s_andn2_b64 s[34:35], s[34:35], exec
	s_and_b64 s[0:1], s[0:1], exec
	s_or_b64 s[36:37], s[36:37], s[40:41]
	s_or_b64 s[34:35], s[34:35], s[0:1]
                                        ; implicit-def: $sgpr40_sgpr41
.LBB5_17:                               ;   in Loop: Header=BB5_18 Depth=3
	s_or_b64 exec, exec, s[42:43]
	s_xor_b64 s[0:1], s[34:35], -1
	s_and_b64 s[0:1], exec, s[0:1]
	s_or_b64 s[38:39], s[0:1], s[38:39]
	s_andn2_b64 s[0:1], s[40:41], exec
	s_and_b64 s[42:43], s[36:37], exec
	s_or_b64 s[40:41], s[0:1], s[42:43]
	s_andn2_b64 s[0:1], s[30:31], exec
	s_or_b64 s[30:31], s[0:1], s[42:43]
	s_andn2_b64 exec, exec, s[38:39]
	s_cbranch_execz .LBB5_14
.LBB5_18:                               ;   Parent Loop BB5_12 Depth=1
                                        ;     Parent Loop BB5_15 Depth=2
                                        ; =>    This Inner Loop Header: Depth=3
	v_lshl_add_u32 v14, v13, 2, 0
	ds_read_b32 v15, v14
	s_andn2_b64 s[36:37], s[36:37], exec
	s_andn2_b64 s[34:35], s[34:35], exec
	s_waitcnt lgkmcnt(0)
	v_cmp_ne_u32_e32 vcc, v15, v5
	s_and_saveexec_b64 s[42:43], vcc
	s_cbranch_execz .LBB5_17
; %bb.19:                               ;   in Loop: Header=BB5_18 Depth=3
	v_cmp_ne_u32_e32 vcc, -1, v15
                                        ; implicit-def: $sgpr44_sgpr45
                                        ; implicit-def: $sgpr0_sgpr1
	s_and_saveexec_b64 s[46:47], vcc
	s_xor_b64 s[46:47], exec, s[46:47]
; %bb.20:                               ;   in Loop: Header=BB5_18 Depth=3
	v_add_u32_e32 v13, 1, v13
	v_and_b32_e32 v13, 0x1ff, v13
	s_mov_b64 s[0:1], -1
	s_and_b64 s[44:45], s[40:41], exec
                                        ; implicit-def: $vgpr14
; %bb.21:                               ;   in Loop: Header=BB5_18 Depth=3
	s_andn2_saveexec_b64 s[46:47], s[46:47]
	s_cbranch_execz .LBB5_16
; %bb.22:                               ;   in Loop: Header=BB5_18 Depth=3
	ds_cmpst_rtn_b32 v14, v14, v12, v5
	s_andn2_b64 s[48:49], s[0:1], exec
	s_andn2_b64 s[44:45], s[44:45], exec
	s_waitcnt lgkmcnt(0)
	v_cmp_eq_u32_e64 s[0:1], -1, v14
	v_cmp_ne_u32_e32 vcc, -1, v14
	s_or_b64 s[40:41], s[0:1], s[40:41]
	s_and_b64 s[0:1], vcc, exec
	s_and_b64 s[40:41], s[40:41], exec
	s_or_b64 s[0:1], s[48:49], s[0:1]
	s_or_b64 s[44:45], s[44:45], s[40:41]
	s_branch .LBB5_16
.LBB5_23:
	s_or_b64 exec, exec, s[24:25]
.LBB5_24:
	s_or_b64 exec, exec, s[20:21]
.LBB5_25:
	s_load_dword s0, s[4:5], 0x54
	s_waitcnt lgkmcnt(0)
	s_bfe_u32 s0, s0, 0x10008
	s_cmp_eq_u32 s0, 0
	s_cbranch_scc1 .LBB5_39
; %bb.26:
	s_ashr_i32 s7, s6, 31
	s_lshl_b64 s[0:1], s[6:7], 2
	s_add_u32 s0, s12, s0
	s_addc_u32 s1, s13, s1
	s_load_dwordx2 s[0:1], s[0:1], 0x0
	v_subrev_u32_e32 v2, s18, v6
	s_waitcnt lgkmcnt(0)
	s_sub_i32 s7, s1, s18
	v_add_u32_e32 v2, s0, v2
	v_cmp_gt_i32_e32 vcc, s7, v2
	s_and_saveexec_b64 s[4:5], vcc
	s_cbranch_execz .LBB5_38
; %bb.27:
	s_mov_b64 s[8:9], 0
	v_mov_b32_e32 v4, s15
	s_movk_i32 s15, 0x4f
	v_mov_b32_e32 v5, -1
	s_branch .LBB5_29
.LBB5_28:                               ;   in Loop: Header=BB5_29 Depth=1
	s_or_b64 exec, exec, s[20:21]
	v_add_u32_e32 v2, 16, v2
	v_cndmask_b32_e64 v3, 0, 1, s[10:11]
	v_cmp_le_i32_e32 vcc, s7, v2
	s_or_b64 s[8:9], vcc, s[8:9]
	v_add_u32_e32 v8, v8, v3
	s_andn2_b64 exec, exec, s[8:9]
	s_cbranch_execz .LBB5_37
.LBB5_29:                               ; =>This Loop Header: Depth=1
                                        ;     Child Loop BB5_32 Depth 2
	v_ashrrev_i32_e32 v3, 31, v2
	v_lshlrev_b64 v[10:11], 2, v[2:3]
	v_add_co_u32_e32 v10, vcc, s14, v10
	v_addc_co_u32_e32 v11, vcc, v4, v11, vcc
	global_load_dword v3, v[10:11], off
	s_mov_b64 s[20:21], 0
                                        ; implicit-def: $sgpr10_sgpr11
                                        ; implicit-def: $sgpr12_sgpr13
                                        ; implicit-def: $sgpr16_sgpr17
                                        ; implicit-def: $sgpr22_sgpr23
	s_waitcnt vmcnt(0)
	v_subrev_u32_e32 v3, s18, v3
	v_mul_lo_u32 v9, v3, s15
	v_and_b32_e32 v9, 0x1ff, v9
	s_branch .LBB5_32
.LBB5_30:                               ;   in Loop: Header=BB5_32 Depth=2
	s_or_b64 exec, exec, s[28:29]
	s_andn2_b64 s[16:17], s[16:17], exec
	s_and_b64 s[22:23], s[26:27], exec
	s_andn2_b64 s[12:13], s[12:13], exec
	s_and_b64 s[0:1], s[0:1], exec
	s_or_b64 s[16:17], s[16:17], s[22:23]
	s_or_b64 s[12:13], s[12:13], s[0:1]
                                        ; implicit-def: $sgpr22_sgpr23
.LBB5_31:                               ;   in Loop: Header=BB5_32 Depth=2
	s_or_b64 exec, exec, s[24:25]
	s_xor_b64 s[0:1], s[12:13], -1
	s_and_b64 s[0:1], exec, s[0:1]
	s_or_b64 s[20:21], s[0:1], s[20:21]
	s_andn2_b64 s[0:1], s[22:23], exec
	s_and_b64 s[24:25], s[16:17], exec
	s_or_b64 s[22:23], s[0:1], s[24:25]
	s_andn2_b64 s[0:1], s[10:11], exec
	s_or_b64 s[10:11], s[0:1], s[24:25]
	s_andn2_b64 exec, exec, s[20:21]
	s_cbranch_execz .LBB5_28
.LBB5_32:                               ;   Parent Loop BB5_29 Depth=1
                                        ; =>  This Inner Loop Header: Depth=2
	v_lshl_add_u32 v10, v9, 2, 0
	ds_read_b32 v11, v10
	s_andn2_b64 s[16:17], s[16:17], exec
	s_andn2_b64 s[12:13], s[12:13], exec
	s_waitcnt lgkmcnt(0)
	v_cmp_ne_u32_e32 vcc, v11, v3
	s_and_saveexec_b64 s[24:25], vcc
	s_cbranch_execz .LBB5_31
; %bb.33:                               ;   in Loop: Header=BB5_32 Depth=2
	v_cmp_ne_u32_e32 vcc, -1, v11
                                        ; implicit-def: $sgpr26_sgpr27
                                        ; implicit-def: $sgpr0_sgpr1
	s_and_saveexec_b64 s[28:29], vcc
	s_xor_b64 s[28:29], exec, s[28:29]
; %bb.34:                               ;   in Loop: Header=BB5_32 Depth=2
	v_add_u32_e32 v9, 1, v9
	v_and_b32_e32 v9, 0x1ff, v9
	s_mov_b64 s[0:1], -1
	s_and_b64 s[26:27], s[22:23], exec
                                        ; implicit-def: $vgpr10
; %bb.35:                               ;   in Loop: Header=BB5_32 Depth=2
	s_andn2_saveexec_b64 s[28:29], s[28:29]
	s_cbranch_execz .LBB5_30
; %bb.36:                               ;   in Loop: Header=BB5_32 Depth=2
	ds_cmpst_rtn_b32 v10, v10, v5, v3
	s_andn2_b64 s[30:31], s[0:1], exec
	s_andn2_b64 s[26:27], s[26:27], exec
	s_waitcnt lgkmcnt(0)
	v_cmp_eq_u32_e64 s[0:1], -1, v10
	v_cmp_ne_u32_e32 vcc, -1, v10
	s_or_b64 s[22:23], s[0:1], s[22:23]
	s_and_b64 s[0:1], vcc, exec
	s_and_b64 s[22:23], s[22:23], exec
	s_or_b64 s[0:1], s[30:31], s[0:1]
	s_or_b64 s[26:27], s[26:27], s[22:23]
	s_branch .LBB5_30
.LBB5_37:
	s_or_b64 exec, exec, s[8:9]
.LBB5_38:
	s_or_b64 exec, exec, s[4:5]
.LBB5_39:
	v_mov_b32_dpp v2, v8 row_shr:1 row_mask:0xf bank_mask:0xf
	v_add_u32_e32 v2, v2, v8
	v_cmp_eq_u32_e32 vcc, 7, v7
	s_nop 0
	v_mov_b32_dpp v3, v2 row_shr:2 row_mask:0xf bank_mask:0xf
	v_add_u32_e32 v2, v2, v3
	s_barrier
	s_nop 0
	v_mov_b32_dpp v3, v2 row_shr:4 row_mask:0xf bank_mask:0xe
	s_and_saveexec_b64 s[0:1], vcc
	s_cbranch_execz .LBB5_41
; %bb.40:
	v_lshl_add_u32 v4, v6, 2, 0
	v_add_u32_e32 v2, v2, v3
	ds_write_b32 v4, v2
.LBB5_41:
	s_or_b64 exec, exec, s[0:1]
	v_cmp_gt_u32_e32 vcc, 16, v0
	v_mov_b32_e32 v2, 0
	s_waitcnt lgkmcnt(0)
	s_barrier
	s_and_saveexec_b64 s[0:1], vcc
	s_cbranch_execz .LBB5_43
; %bb.42:
	ds_read_b32 v2, v1
.LBB5_43:
	s_or_b64 exec, exec, s[0:1]
	s_waitcnt lgkmcnt(0)
	v_mov_b32_dpp v1, v2 row_shr:1 row_mask:0xf bank_mask:0xf
	v_add_u32_e32 v1, v1, v2
	v_cmp_eq_u32_e32 vcc, 15, v0
	s_nop 0
	v_mov_b32_dpp v2, v1 row_shr:2 row_mask:0xf bank_mask:0xf
	v_add_u32_e32 v1, v1, v2
	s_nop 1
	v_mov_b32_dpp v2, v1 row_shr:4 row_mask:0xf bank_mask:0xe
	v_add_u32_e32 v1, v1, v2
	s_nop 1
	v_mov_b32_dpp v2, v1 row_shr:8 row_mask:0xf bank_mask:0xc
	s_and_saveexec_b64 s[0:1], vcc
	s_cbranch_execz .LBB5_45
; %bb.44:
	s_ashr_i32 s7, s6, 31
	s_lshl_b64 s[0:1], s[6:7], 2
	s_add_u32 s0, s2, s0
	s_addc_u32 s1, s3, s1
	v_mov_b32_e32 v0, 0
	v_add_u32_e32 v1, v1, v2
	global_store_dword v0, v1, s[0:1]
.LBB5_45:
	s_endpgm
	.section	.rodata,"a",@progbits
	.p2align	6, 0x0
	.amdhsa_kernel _ZN9rocsparseL25csrgemm_nnz_block_per_rowILj128ELj8ELj512ELj79EiiEEvPKT4_S3_PKT3_S3_S6_S3_S6_S3_PS4_21rocsparse_index_base_S8_S8_bb
		.amdhsa_group_segment_fixed_size 0
		.amdhsa_private_segment_fixed_size 0
		.amdhsa_kernarg_size 88
		.amdhsa_user_sgpr_count 6
		.amdhsa_user_sgpr_private_segment_buffer 1
		.amdhsa_user_sgpr_dispatch_ptr 0
		.amdhsa_user_sgpr_queue_ptr 0
		.amdhsa_user_sgpr_kernarg_segment_ptr 1
		.amdhsa_user_sgpr_dispatch_id 0
		.amdhsa_user_sgpr_flat_scratch_init 0
		.amdhsa_user_sgpr_kernarg_preload_length 0
		.amdhsa_user_sgpr_kernarg_preload_offset 0
		.amdhsa_user_sgpr_private_segment_size 0
		.amdhsa_uses_dynamic_stack 0
		.amdhsa_system_sgpr_private_segment_wavefront_offset 0
		.amdhsa_system_sgpr_workgroup_id_x 1
		.amdhsa_system_sgpr_workgroup_id_y 0
		.amdhsa_system_sgpr_workgroup_id_z 0
		.amdhsa_system_sgpr_workgroup_info 0
		.amdhsa_system_vgpr_workitem_id 0
		.amdhsa_next_free_vgpr 16
		.amdhsa_next_free_sgpr 50
		.amdhsa_accum_offset 16
		.amdhsa_reserve_vcc 1
		.amdhsa_reserve_flat_scratch 0
		.amdhsa_float_round_mode_32 0
		.amdhsa_float_round_mode_16_64 0
		.amdhsa_float_denorm_mode_32 3
		.amdhsa_float_denorm_mode_16_64 3
		.amdhsa_dx10_clamp 1
		.amdhsa_ieee_mode 1
		.amdhsa_fp16_overflow 0
		.amdhsa_tg_split 0
		.amdhsa_exception_fp_ieee_invalid_op 0
		.amdhsa_exception_fp_denorm_src 0
		.amdhsa_exception_fp_ieee_div_zero 0
		.amdhsa_exception_fp_ieee_overflow 0
		.amdhsa_exception_fp_ieee_underflow 0
		.amdhsa_exception_fp_ieee_inexact 0
		.amdhsa_exception_int_div_zero 0
	.end_amdhsa_kernel
	.section	.text._ZN9rocsparseL25csrgemm_nnz_block_per_rowILj128ELj8ELj512ELj79EiiEEvPKT4_S3_PKT3_S3_S6_S3_S6_S3_PS4_21rocsparse_index_base_S8_S8_bb,"axG",@progbits,_ZN9rocsparseL25csrgemm_nnz_block_per_rowILj128ELj8ELj512ELj79EiiEEvPKT4_S3_PKT3_S3_S6_S3_S6_S3_PS4_21rocsparse_index_base_S8_S8_bb,comdat
.Lfunc_end5:
	.size	_ZN9rocsparseL25csrgemm_nnz_block_per_rowILj128ELj8ELj512ELj79EiiEEvPKT4_S3_PKT3_S3_S6_S3_S6_S3_PS4_21rocsparse_index_base_S8_S8_bb, .Lfunc_end5-_ZN9rocsparseL25csrgemm_nnz_block_per_rowILj128ELj8ELj512ELj79EiiEEvPKT4_S3_PKT3_S3_S6_S3_S6_S3_PS4_21rocsparse_index_base_S8_S8_bb
                                        ; -- End function
	.section	.AMDGPU.csdata,"",@progbits
; Kernel info:
; codeLenInByte = 1408
; NumSgprs: 54
; NumVgprs: 16
; NumAgprs: 0
; TotalNumVgprs: 16
; ScratchSize: 0
; MemoryBound: 0
; FloatMode: 240
; IeeeMode: 1
; LDSByteSize: 0 bytes/workgroup (compile time only)
; SGPRBlocks: 6
; VGPRBlocks: 1
; NumSGPRsForWavesPerEU: 54
; NumVGPRsForWavesPerEU: 16
; AccumOffset: 16
; Occupancy: 8
; WaveLimiterHint : 1
; COMPUTE_PGM_RSRC2:SCRATCH_EN: 0
; COMPUTE_PGM_RSRC2:USER_SGPR: 6
; COMPUTE_PGM_RSRC2:TRAP_HANDLER: 0
; COMPUTE_PGM_RSRC2:TGID_X_EN: 1
; COMPUTE_PGM_RSRC2:TGID_Y_EN: 0
; COMPUTE_PGM_RSRC2:TGID_Z_EN: 0
; COMPUTE_PGM_RSRC2:TIDIG_COMP_CNT: 0
; COMPUTE_PGM_RSRC3_GFX90A:ACCUM_OFFSET: 3
; COMPUTE_PGM_RSRC3_GFX90A:TG_SPLIT: 0
	.section	.text._ZN9rocsparseL25csrgemm_nnz_block_per_rowILj128ELj8ELj1024ELj79EiiEEvPKT4_S3_PKT3_S3_S6_S3_S6_S3_PS4_21rocsparse_index_base_S8_S8_bb,"axG",@progbits,_ZN9rocsparseL25csrgemm_nnz_block_per_rowILj128ELj8ELj1024ELj79EiiEEvPKT4_S3_PKT3_S3_S6_S3_S6_S3_PS4_21rocsparse_index_base_S8_S8_bb,comdat
	.globl	_ZN9rocsparseL25csrgemm_nnz_block_per_rowILj128ELj8ELj1024ELj79EiiEEvPKT4_S3_PKT3_S3_S6_S3_S6_S3_PS4_21rocsparse_index_base_S8_S8_bb ; -- Begin function _ZN9rocsparseL25csrgemm_nnz_block_per_rowILj128ELj8ELj1024ELj79EiiEEvPKT4_S3_PKT3_S3_S6_S3_S6_S3_PS4_21rocsparse_index_base_S8_S8_bb
	.p2align	8
	.type	_ZN9rocsparseL25csrgemm_nnz_block_per_rowILj128ELj8ELj1024ELj79EiiEEvPKT4_S3_PKT3_S3_S6_S3_S6_S3_PS4_21rocsparse_index_base_S8_S8_bb,@function
_ZN9rocsparseL25csrgemm_nnz_block_per_rowILj128ELj8ELj1024ELj79EiiEEvPKT4_S3_PKT3_S3_S6_S3_S6_S3_PS4_21rocsparse_index_base_S8_S8_bb: ; @_ZN9rocsparseL25csrgemm_nnz_block_per_rowILj128ELj8ELj1024ELj79EiiEEvPKT4_S3_PKT3_S3_S6_S3_S6_S3_PS4_21rocsparse_index_base_S8_S8_bb
; %bb.0:
	s_load_dwordx8 s[16:23], s[4:5], 0x0
	s_mov_b32 s1, 0
	v_lshl_add_u32 v1, v0, 2, 0
	v_mov_b32_e32 v2, -1
	s_waitcnt lgkmcnt(0)
	s_load_dword s0, s[16:17], 0x0
	s_load_dwordx2 s[2:3], s[4:5], 0x40
	s_load_dwordx8 s[8:15], s[4:5], 0x20
	s_mov_b64 s[16:17], 0
	s_waitcnt lgkmcnt(0)
	s_add_i32 s0, s0, s6
	s_lshl_b64 s[6:7], s[0:1], 2
	s_add_u32 s6, s18, s6
	s_addc_u32 s7, s19, s7
	s_load_dword s6, s[6:7], 0x0
	s_branch .LBB6_2
.LBB6_1:                                ;   in Loop: Header=BB6_2 Depth=1
	s_or_b64 exec, exec, s[24:25]
	s_add_i32 s1, s1, 2
	v_cmp_eq_u32_e64 s[18:19], 8, s1
	s_or_b64 s[16:17], s[18:19], s[16:17]
	v_add_u32_e32 v1, 0x400, v1
	s_andn2_b64 exec, exec, s[16:17]
	s_cbranch_execz .LBB6_6
.LBB6_2:                                ; =>This Inner Loop Header: Depth=1
	s_or_b32 s0, s1, 1
	v_cmp_le_u32_e64 s[18:19], s0, 7
	v_cmp_le_u32_e64 s[26:27], s1, 7
	s_and_saveexec_b64 s[24:25], s[26:27]
	s_cbranch_execz .LBB6_4
; %bb.3:                                ;   in Loop: Header=BB6_2 Depth=1
	ds_write_b32 v1, v2
.LBB6_4:                                ;   in Loop: Header=BB6_2 Depth=1
	s_or_b64 exec, exec, s[24:25]
	s_and_saveexec_b64 s[24:25], s[18:19]
	s_cbranch_execz .LBB6_1
; %bb.5:                                ;   in Loop: Header=BB6_2 Depth=1
	ds_write_b32 v1, v2 offset:512
	s_branch .LBB6_1
.LBB6_6:
	s_or_b64 exec, exec, s[16:17]
	s_load_dwordx4 s[16:19], s[4:5], 0x48
	v_and_b32_e32 v6, 7, v0
	v_lshrrev_b32_e32 v1, 3, v0
	v_mov_b32_e32 v7, 0
	s_waitcnt lgkmcnt(0)
	s_bitcmp0_b32 s19, 0
	s_barrier
	s_cbranch_scc1 .LBB6_24
; %bb.7:
	s_ashr_i32 s7, s6, 31
	s_lshl_b64 s[0:1], s[6:7], 2
	s_add_u32 s0, s20, s0
	s_addc_u32 s1, s21, s1
	s_load_dwordx2 s[0:1], s[0:1], 0x0
	v_subrev_u32_e32 v2, s16, v1
	v_mov_b32_e32 v7, 0
	s_waitcnt lgkmcnt(0)
	s_sub_i32 s7, s1, s16
	v_add_u32_e32 v2, s0, v2
	v_cmp_gt_i32_e32 vcc, s7, v2
	s_and_saveexec_b64 s[20:21], vcc
	s_cbranch_execz .LBB6_23
; %bb.8:
	v_subrev_u32_e32 v8, s17, v6
	s_mov_b64 s[24:25], 0
	v_mov_b32_e32 v7, 0
	v_mov_b32_e32 v9, s23
	;; [unrolled: 1-line block ×3, first 2 shown]
	s_movk_i32 s9, 0x4f
	v_mov_b32_e32 v11, -1
	s_branch .LBB6_11
.LBB6_9:                                ;   in Loop: Header=BB6_11 Depth=1
	s_or_b64 exec, exec, s[28:29]
.LBB6_10:                               ;   in Loop: Header=BB6_11 Depth=1
	s_or_b64 exec, exec, s[26:27]
	v_add_u32_e32 v2, 16, v2
	v_cmp_le_i32_e32 vcc, s7, v2
	s_or_b64 s[24:25], vcc, s[24:25]
	s_andn2_b64 exec, exec, s[24:25]
	s_cbranch_execz .LBB6_22
.LBB6_11:                               ; =>This Loop Header: Depth=1
                                        ;     Child Loop BB6_14 Depth 2
                                        ;       Child Loop BB6_17 Depth 3
	v_ashrrev_i32_e32 v3, 31, v2
	v_lshlrev_b64 v[4:5], 2, v[2:3]
	v_add_co_u32_e32 v4, vcc, s22, v4
	v_addc_co_u32_e32 v5, vcc, v9, v5, vcc
	global_load_dword v3, v[4:5], off
	s_waitcnt vmcnt(0)
	v_subrev_u32_e32 v4, s16, v3
	v_ashrrev_i32_e32 v5, 31, v4
	v_lshlrev_b64 v[4:5], 2, v[4:5]
	v_add_co_u32_e32 v4, vcc, s8, v4
	v_addc_co_u32_e32 v5, vcc, v10, v5, vcc
	global_load_dwordx2 v[4:5], v[4:5], off
	s_waitcnt vmcnt(0)
	v_subrev_u32_e32 v3, s17, v5
	v_add_u32_e32 v4, v8, v4
	v_cmp_lt_i32_e32 vcc, v4, v3
	s_and_saveexec_b64 s[26:27], vcc
	s_cbranch_execz .LBB6_10
; %bb.12:                               ;   in Loop: Header=BB6_11 Depth=1
	s_mov_b64 s[28:29], 0
	s_branch .LBB6_14
.LBB6_13:                               ;   in Loop: Header=BB6_14 Depth=2
	s_or_b64 exec, exec, s[38:39]
	v_add_u32_e32 v4, 8, v4
	v_cndmask_b32_e64 v5, 0, 1, s[30:31]
	v_cmp_ge_i32_e32 vcc, v4, v3
	s_or_b64 s[28:29], vcc, s[28:29]
	v_add_u32_e32 v7, v7, v5
	s_andn2_b64 exec, exec, s[28:29]
	s_cbranch_execz .LBB6_9
.LBB6_14:                               ;   Parent Loop BB6_11 Depth=1
                                        ; =>  This Loop Header: Depth=2
                                        ;       Child Loop BB6_17 Depth 3
	v_ashrrev_i32_e32 v5, 31, v4
	v_lshlrev_b64 v[12:13], 2, v[4:5]
	v_mov_b32_e32 v5, s11
	v_add_co_u32_e32 v12, vcc, s10, v12
	v_addc_co_u32_e32 v13, vcc, v5, v13, vcc
	global_load_dword v5, v[12:13], off
	s_mov_b64 s[38:39], 0
                                        ; implicit-def: $sgpr30_sgpr31
                                        ; implicit-def: $sgpr34_sgpr35
                                        ; implicit-def: $sgpr36_sgpr37
                                        ; implicit-def: $sgpr40_sgpr41
	s_waitcnt vmcnt(0)
	v_subrev_u32_e32 v5, s17, v5
	v_mul_lo_u32 v12, v5, s9
	v_and_b32_e32 v12, 0x3ff, v12
	s_branch .LBB6_17
.LBB6_15:                               ;   in Loop: Header=BB6_17 Depth=3
	s_or_b64 exec, exec, s[46:47]
	s_andn2_b64 s[36:37], s[36:37], exec
	s_and_b64 s[40:41], s[44:45], exec
	s_andn2_b64 s[34:35], s[34:35], exec
	s_and_b64 s[0:1], s[0:1], exec
	s_or_b64 s[36:37], s[36:37], s[40:41]
	s_or_b64 s[34:35], s[34:35], s[0:1]
                                        ; implicit-def: $sgpr40_sgpr41
.LBB6_16:                               ;   in Loop: Header=BB6_17 Depth=3
	s_or_b64 exec, exec, s[42:43]
	s_xor_b64 s[0:1], s[34:35], -1
	s_and_b64 s[0:1], exec, s[0:1]
	s_or_b64 s[38:39], s[0:1], s[38:39]
	s_andn2_b64 s[0:1], s[40:41], exec
	s_and_b64 s[42:43], s[36:37], exec
	s_or_b64 s[40:41], s[0:1], s[42:43]
	s_andn2_b64 s[0:1], s[30:31], exec
	s_or_b64 s[30:31], s[0:1], s[42:43]
	s_andn2_b64 exec, exec, s[38:39]
	s_cbranch_execz .LBB6_13
.LBB6_17:                               ;   Parent Loop BB6_11 Depth=1
                                        ;     Parent Loop BB6_14 Depth=2
                                        ; =>    This Inner Loop Header: Depth=3
	v_lshl_add_u32 v13, v12, 2, 0
	ds_read_b32 v14, v13
	s_andn2_b64 s[36:37], s[36:37], exec
	s_andn2_b64 s[34:35], s[34:35], exec
	s_waitcnt lgkmcnt(0)
	v_cmp_ne_u32_e32 vcc, v14, v5
	s_and_saveexec_b64 s[42:43], vcc
	s_cbranch_execz .LBB6_16
; %bb.18:                               ;   in Loop: Header=BB6_17 Depth=3
	v_cmp_ne_u32_e32 vcc, -1, v14
                                        ; implicit-def: $sgpr44_sgpr45
                                        ; implicit-def: $sgpr0_sgpr1
	s_and_saveexec_b64 s[46:47], vcc
	s_xor_b64 s[46:47], exec, s[46:47]
; %bb.19:                               ;   in Loop: Header=BB6_17 Depth=3
	v_add_u32_e32 v12, 1, v12
	v_and_b32_e32 v12, 0x3ff, v12
	s_mov_b64 s[0:1], -1
	s_and_b64 s[44:45], s[40:41], exec
                                        ; implicit-def: $vgpr13
; %bb.20:                               ;   in Loop: Header=BB6_17 Depth=3
	s_andn2_saveexec_b64 s[46:47], s[46:47]
	s_cbranch_execz .LBB6_15
; %bb.21:                               ;   in Loop: Header=BB6_17 Depth=3
	ds_cmpst_rtn_b32 v13, v13, v11, v5
	s_andn2_b64 s[48:49], s[0:1], exec
	s_andn2_b64 s[44:45], s[44:45], exec
	s_waitcnt lgkmcnt(0)
	v_cmp_eq_u32_e64 s[0:1], -1, v13
	v_cmp_ne_u32_e32 vcc, -1, v13
	s_or_b64 s[40:41], s[0:1], s[40:41]
	s_and_b64 s[0:1], vcc, exec
	s_and_b64 s[40:41], s[40:41], exec
	s_or_b64 s[0:1], s[48:49], s[0:1]
	s_or_b64 s[44:45], s[44:45], s[40:41]
	s_branch .LBB6_15
.LBB6_22:
	s_or_b64 exec, exec, s[24:25]
.LBB6_23:
	s_or_b64 exec, exec, s[20:21]
.LBB6_24:
	s_load_dword s0, s[4:5], 0x54
	s_waitcnt lgkmcnt(0)
	s_bfe_u32 s0, s0, 0x10008
	s_cmp_eq_u32 s0, 0
	s_cbranch_scc1 .LBB6_38
; %bb.25:
	s_ashr_i32 s7, s6, 31
	s_lshl_b64 s[0:1], s[6:7], 2
	s_add_u32 s0, s12, s0
	s_addc_u32 s1, s13, s1
	s_load_dwordx2 s[0:1], s[0:1], 0x0
	v_subrev_u32_e32 v2, s18, v1
	s_waitcnt lgkmcnt(0)
	s_sub_i32 s7, s1, s18
	v_add_u32_e32 v2, s0, v2
	v_cmp_gt_i32_e32 vcc, s7, v2
	s_and_saveexec_b64 s[4:5], vcc
	s_cbranch_execz .LBB6_37
; %bb.26:
	s_mov_b64 s[8:9], 0
	v_mov_b32_e32 v4, s15
	s_movk_i32 s15, 0x4f
	v_mov_b32_e32 v5, -1
	s_branch .LBB6_28
.LBB6_27:                               ;   in Loop: Header=BB6_28 Depth=1
	s_or_b64 exec, exec, s[20:21]
	v_add_u32_e32 v2, 16, v2
	v_cndmask_b32_e64 v3, 0, 1, s[10:11]
	v_cmp_le_i32_e32 vcc, s7, v2
	s_or_b64 s[8:9], vcc, s[8:9]
	v_add_u32_e32 v7, v7, v3
	s_andn2_b64 exec, exec, s[8:9]
	s_cbranch_execz .LBB6_36
.LBB6_28:                               ; =>This Loop Header: Depth=1
                                        ;     Child Loop BB6_31 Depth 2
	v_ashrrev_i32_e32 v3, 31, v2
	v_lshlrev_b64 v[8:9], 2, v[2:3]
	v_add_co_u32_e32 v8, vcc, s14, v8
	v_addc_co_u32_e32 v9, vcc, v4, v9, vcc
	global_load_dword v3, v[8:9], off
	s_mov_b64 s[20:21], 0
                                        ; implicit-def: $sgpr10_sgpr11
                                        ; implicit-def: $sgpr12_sgpr13
                                        ; implicit-def: $sgpr16_sgpr17
                                        ; implicit-def: $sgpr22_sgpr23
	s_waitcnt vmcnt(0)
	v_subrev_u32_e32 v3, s18, v3
	v_mul_lo_u32 v8, v3, s15
	v_and_b32_e32 v8, 0x3ff, v8
	s_branch .LBB6_31
.LBB6_29:                               ;   in Loop: Header=BB6_31 Depth=2
	s_or_b64 exec, exec, s[28:29]
	s_andn2_b64 s[16:17], s[16:17], exec
	s_and_b64 s[22:23], s[26:27], exec
	s_andn2_b64 s[12:13], s[12:13], exec
	s_and_b64 s[0:1], s[0:1], exec
	s_or_b64 s[16:17], s[16:17], s[22:23]
	s_or_b64 s[12:13], s[12:13], s[0:1]
                                        ; implicit-def: $sgpr22_sgpr23
.LBB6_30:                               ;   in Loop: Header=BB6_31 Depth=2
	s_or_b64 exec, exec, s[24:25]
	s_xor_b64 s[0:1], s[12:13], -1
	s_and_b64 s[0:1], exec, s[0:1]
	s_or_b64 s[20:21], s[0:1], s[20:21]
	s_andn2_b64 s[0:1], s[22:23], exec
	s_and_b64 s[24:25], s[16:17], exec
	s_or_b64 s[22:23], s[0:1], s[24:25]
	s_andn2_b64 s[0:1], s[10:11], exec
	s_or_b64 s[10:11], s[0:1], s[24:25]
	s_andn2_b64 exec, exec, s[20:21]
	s_cbranch_execz .LBB6_27
.LBB6_31:                               ;   Parent Loop BB6_28 Depth=1
                                        ; =>  This Inner Loop Header: Depth=2
	v_lshl_add_u32 v9, v8, 2, 0
	ds_read_b32 v10, v9
	s_andn2_b64 s[16:17], s[16:17], exec
	s_andn2_b64 s[12:13], s[12:13], exec
	s_waitcnt lgkmcnt(0)
	v_cmp_ne_u32_e32 vcc, v10, v3
	s_and_saveexec_b64 s[24:25], vcc
	s_cbranch_execz .LBB6_30
; %bb.32:                               ;   in Loop: Header=BB6_31 Depth=2
	v_cmp_ne_u32_e32 vcc, -1, v10
                                        ; implicit-def: $sgpr26_sgpr27
                                        ; implicit-def: $sgpr0_sgpr1
	s_and_saveexec_b64 s[28:29], vcc
	s_xor_b64 s[28:29], exec, s[28:29]
; %bb.33:                               ;   in Loop: Header=BB6_31 Depth=2
	v_add_u32_e32 v8, 1, v8
	v_and_b32_e32 v8, 0x3ff, v8
	s_mov_b64 s[0:1], -1
	s_and_b64 s[26:27], s[22:23], exec
                                        ; implicit-def: $vgpr9
; %bb.34:                               ;   in Loop: Header=BB6_31 Depth=2
	s_andn2_saveexec_b64 s[28:29], s[28:29]
	s_cbranch_execz .LBB6_29
; %bb.35:                               ;   in Loop: Header=BB6_31 Depth=2
	ds_cmpst_rtn_b32 v9, v9, v5, v3
	s_andn2_b64 s[30:31], s[0:1], exec
	s_andn2_b64 s[26:27], s[26:27], exec
	s_waitcnt lgkmcnt(0)
	v_cmp_eq_u32_e64 s[0:1], -1, v9
	v_cmp_ne_u32_e32 vcc, -1, v9
	s_or_b64 s[22:23], s[0:1], s[22:23]
	s_and_b64 s[0:1], vcc, exec
	s_and_b64 s[22:23], s[22:23], exec
	s_or_b64 s[0:1], s[30:31], s[0:1]
	s_or_b64 s[26:27], s[26:27], s[22:23]
	s_branch .LBB6_29
.LBB6_36:
	s_or_b64 exec, exec, s[8:9]
.LBB6_37:
	s_or_b64 exec, exec, s[4:5]
.LBB6_38:
	v_mov_b32_dpp v2, v7 row_shr:1 row_mask:0xf bank_mask:0xf
	v_add_u32_e32 v2, v2, v7
	v_cmp_eq_u32_e32 vcc, 7, v6
	s_nop 0
	v_mov_b32_dpp v3, v2 row_shr:2 row_mask:0xf bank_mask:0xf
	v_add_u32_e32 v2, v2, v3
	s_barrier
	s_nop 0
	v_mov_b32_dpp v3, v2 row_shr:4 row_mask:0xf bank_mask:0xe
	s_and_saveexec_b64 s[0:1], vcc
	s_cbranch_execz .LBB6_40
; %bb.39:
	v_lshl_add_u32 v1, v1, 2, 0
	v_add_u32_e32 v2, v2, v3
	ds_write_b32 v1, v2
.LBB6_40:
	s_or_b64 exec, exec, s[0:1]
	v_cmp_gt_u32_e32 vcc, 16, v0
	v_mov_b32_e32 v1, 0
	s_waitcnt lgkmcnt(0)
	s_barrier
	s_and_saveexec_b64 s[0:1], vcc
	s_cbranch_execz .LBB6_42
; %bb.41:
	v_lshl_add_u32 v1, v0, 2, 0
	ds_read_b32 v1, v1
.LBB6_42:
	s_or_b64 exec, exec, s[0:1]
	s_waitcnt lgkmcnt(0)
	v_mov_b32_dpp v2, v1 row_shr:1 row_mask:0xf bank_mask:0xf
	v_add_u32_e32 v1, v2, v1
	v_cmp_eq_u32_e32 vcc, 15, v0
	s_nop 0
	v_mov_b32_dpp v2, v1 row_shr:2 row_mask:0xf bank_mask:0xf
	v_add_u32_e32 v1, v1, v2
	s_nop 1
	v_mov_b32_dpp v2, v1 row_shr:4 row_mask:0xf bank_mask:0xe
	v_add_u32_e32 v1, v1, v2
	s_nop 1
	v_mov_b32_dpp v2, v1 row_shr:8 row_mask:0xf bank_mask:0xc
	s_and_saveexec_b64 s[0:1], vcc
	s_cbranch_execz .LBB6_44
; %bb.43:
	s_ashr_i32 s7, s6, 31
	s_lshl_b64 s[0:1], s[6:7], 2
	s_add_u32 s0, s2, s0
	s_addc_u32 s1, s3, s1
	v_mov_b32_e32 v0, 0
	v_add_u32_e32 v1, v1, v2
	global_store_dword v0, v1, s[0:1]
.LBB6_44:
	s_endpgm
	.section	.rodata,"a",@progbits
	.p2align	6, 0x0
	.amdhsa_kernel _ZN9rocsparseL25csrgemm_nnz_block_per_rowILj128ELj8ELj1024ELj79EiiEEvPKT4_S3_PKT3_S3_S6_S3_S6_S3_PS4_21rocsparse_index_base_S8_S8_bb
		.amdhsa_group_segment_fixed_size 0
		.amdhsa_private_segment_fixed_size 0
		.amdhsa_kernarg_size 88
		.amdhsa_user_sgpr_count 6
		.amdhsa_user_sgpr_private_segment_buffer 1
		.amdhsa_user_sgpr_dispatch_ptr 0
		.amdhsa_user_sgpr_queue_ptr 0
		.amdhsa_user_sgpr_kernarg_segment_ptr 1
		.amdhsa_user_sgpr_dispatch_id 0
		.amdhsa_user_sgpr_flat_scratch_init 0
		.amdhsa_user_sgpr_kernarg_preload_length 0
		.amdhsa_user_sgpr_kernarg_preload_offset 0
		.amdhsa_user_sgpr_private_segment_size 0
		.amdhsa_uses_dynamic_stack 0
		.amdhsa_system_sgpr_private_segment_wavefront_offset 0
		.amdhsa_system_sgpr_workgroup_id_x 1
		.amdhsa_system_sgpr_workgroup_id_y 0
		.amdhsa_system_sgpr_workgroup_id_z 0
		.amdhsa_system_sgpr_workgroup_info 0
		.amdhsa_system_vgpr_workitem_id 0
		.amdhsa_next_free_vgpr 15
		.amdhsa_next_free_sgpr 50
		.amdhsa_accum_offset 16
		.amdhsa_reserve_vcc 1
		.amdhsa_reserve_flat_scratch 0
		.amdhsa_float_round_mode_32 0
		.amdhsa_float_round_mode_16_64 0
		.amdhsa_float_denorm_mode_32 3
		.amdhsa_float_denorm_mode_16_64 3
		.amdhsa_dx10_clamp 1
		.amdhsa_ieee_mode 1
		.amdhsa_fp16_overflow 0
		.amdhsa_tg_split 0
		.amdhsa_exception_fp_ieee_invalid_op 0
		.amdhsa_exception_fp_denorm_src 0
		.amdhsa_exception_fp_ieee_div_zero 0
		.amdhsa_exception_fp_ieee_overflow 0
		.amdhsa_exception_fp_ieee_underflow 0
		.amdhsa_exception_fp_ieee_inexact 0
		.amdhsa_exception_int_div_zero 0
	.end_amdhsa_kernel
	.section	.text._ZN9rocsparseL25csrgemm_nnz_block_per_rowILj128ELj8ELj1024ELj79EiiEEvPKT4_S3_PKT3_S3_S6_S3_S6_S3_PS4_21rocsparse_index_base_S8_S8_bb,"axG",@progbits,_ZN9rocsparseL25csrgemm_nnz_block_per_rowILj128ELj8ELj1024ELj79EiiEEvPKT4_S3_PKT3_S3_S6_S3_S6_S3_PS4_21rocsparse_index_base_S8_S8_bb,comdat
.Lfunc_end6:
	.size	_ZN9rocsparseL25csrgemm_nnz_block_per_rowILj128ELj8ELj1024ELj79EiiEEvPKT4_S3_PKT3_S3_S6_S3_S6_S3_PS4_21rocsparse_index_base_S8_S8_bb, .Lfunc_end6-_ZN9rocsparseL25csrgemm_nnz_block_per_rowILj128ELj8ELj1024ELj79EiiEEvPKT4_S3_PKT3_S3_S6_S3_S6_S3_PS4_21rocsparse_index_base_S8_S8_bb
                                        ; -- End function
	.section	.AMDGPU.csdata,"",@progbits
; Kernel info:
; codeLenInByte = 1396
; NumSgprs: 54
; NumVgprs: 15
; NumAgprs: 0
; TotalNumVgprs: 15
; ScratchSize: 0
; MemoryBound: 0
; FloatMode: 240
; IeeeMode: 1
; LDSByteSize: 0 bytes/workgroup (compile time only)
; SGPRBlocks: 6
; VGPRBlocks: 1
; NumSGPRsForWavesPerEU: 54
; NumVGPRsForWavesPerEU: 15
; AccumOffset: 16
; Occupancy: 8
; WaveLimiterHint : 1
; COMPUTE_PGM_RSRC2:SCRATCH_EN: 0
; COMPUTE_PGM_RSRC2:USER_SGPR: 6
; COMPUTE_PGM_RSRC2:TRAP_HANDLER: 0
; COMPUTE_PGM_RSRC2:TGID_X_EN: 1
; COMPUTE_PGM_RSRC2:TGID_Y_EN: 0
; COMPUTE_PGM_RSRC2:TGID_Z_EN: 0
; COMPUTE_PGM_RSRC2:TIDIG_COMP_CNT: 0
; COMPUTE_PGM_RSRC3_GFX90A:ACCUM_OFFSET: 3
; COMPUTE_PGM_RSRC3_GFX90A:TG_SPLIT: 0
	.section	.text._ZN9rocsparseL25csrgemm_nnz_block_per_rowILj256ELj16ELj2048ELj79EiiEEvPKT4_S3_PKT3_S3_S6_S3_S6_S3_PS4_21rocsparse_index_base_S8_S8_bb,"axG",@progbits,_ZN9rocsparseL25csrgemm_nnz_block_per_rowILj256ELj16ELj2048ELj79EiiEEvPKT4_S3_PKT3_S3_S6_S3_S6_S3_PS4_21rocsparse_index_base_S8_S8_bb,comdat
	.globl	_ZN9rocsparseL25csrgemm_nnz_block_per_rowILj256ELj16ELj2048ELj79EiiEEvPKT4_S3_PKT3_S3_S6_S3_S6_S3_PS4_21rocsparse_index_base_S8_S8_bb ; -- Begin function _ZN9rocsparseL25csrgemm_nnz_block_per_rowILj256ELj16ELj2048ELj79EiiEEvPKT4_S3_PKT3_S3_S6_S3_S6_S3_PS4_21rocsparse_index_base_S8_S8_bb
	.p2align	8
	.type	_ZN9rocsparseL25csrgemm_nnz_block_per_rowILj256ELj16ELj2048ELj79EiiEEvPKT4_S3_PKT3_S3_S6_S3_S6_S3_PS4_21rocsparse_index_base_S8_S8_bb,@function
_ZN9rocsparseL25csrgemm_nnz_block_per_rowILj256ELj16ELj2048ELj79EiiEEvPKT4_S3_PKT3_S3_S6_S3_S6_S3_PS4_21rocsparse_index_base_S8_S8_bb: ; @_ZN9rocsparseL25csrgemm_nnz_block_per_rowILj256ELj16ELj2048ELj79EiiEEvPKT4_S3_PKT3_S3_S6_S3_S6_S3_PS4_21rocsparse_index_base_S8_S8_bb
; %bb.0:
	s_load_dwordx8 s[16:23], s[4:5], 0x0
	s_mov_b32 s1, 0
	v_lshl_add_u32 v1, v0, 2, 0
	v_mov_b32_e32 v2, -1
	s_waitcnt lgkmcnt(0)
	s_load_dword s0, s[16:17], 0x0
	s_load_dwordx2 s[2:3], s[4:5], 0x40
	s_load_dwordx8 s[8:15], s[4:5], 0x20
	s_mov_b64 s[16:17], 0
	s_waitcnt lgkmcnt(0)
	s_add_i32 s0, s0, s6
	s_lshl_b64 s[6:7], s[0:1], 2
	s_add_u32 s6, s18, s6
	s_addc_u32 s7, s19, s7
	s_load_dword s6, s[6:7], 0x0
	s_branch .LBB7_2
.LBB7_1:                                ;   in Loop: Header=BB7_2 Depth=1
	s_or_b64 exec, exec, s[24:25]
	s_add_i32 s1, s1, 2
	v_cmp_eq_u32_e64 s[18:19], 8, s1
	s_or_b64 s[16:17], s[18:19], s[16:17]
	v_add_u32_e32 v1, 0x800, v1
	s_andn2_b64 exec, exec, s[16:17]
	s_cbranch_execz .LBB7_6
.LBB7_2:                                ; =>This Inner Loop Header: Depth=1
	s_or_b32 s0, s1, 1
	v_cmp_le_u32_e64 s[18:19], s0, 7
	v_cmp_le_u32_e64 s[26:27], s1, 7
	s_and_saveexec_b64 s[24:25], s[26:27]
	s_cbranch_execz .LBB7_4
; %bb.3:                                ;   in Loop: Header=BB7_2 Depth=1
	ds_write_b32 v1, v2
.LBB7_4:                                ;   in Loop: Header=BB7_2 Depth=1
	s_or_b64 exec, exec, s[24:25]
	s_and_saveexec_b64 s[24:25], s[18:19]
	s_cbranch_execz .LBB7_1
; %bb.5:                                ;   in Loop: Header=BB7_2 Depth=1
	ds_write_b32 v1, v2 offset:1024
	s_branch .LBB7_1
.LBB7_6:
	s_or_b64 exec, exec, s[16:17]
	s_load_dwordx4 s[16:19], s[4:5], 0x48
	v_and_b32_e32 v6, 15, v0
	v_lshrrev_b32_e32 v1, 4, v0
	v_mov_b32_e32 v7, 0
	s_waitcnt lgkmcnt(0)
	s_bitcmp0_b32 s19, 0
	s_barrier
	s_cbranch_scc1 .LBB7_24
; %bb.7:
	s_ashr_i32 s7, s6, 31
	s_lshl_b64 s[0:1], s[6:7], 2
	s_add_u32 s0, s20, s0
	s_addc_u32 s1, s21, s1
	s_load_dwordx2 s[0:1], s[0:1], 0x0
	v_subrev_u32_e32 v2, s16, v1
	v_mov_b32_e32 v7, 0
	s_waitcnt lgkmcnt(0)
	s_sub_i32 s7, s1, s16
	v_add_u32_e32 v2, s0, v2
	v_cmp_gt_i32_e32 vcc, s7, v2
	s_and_saveexec_b64 s[20:21], vcc
	s_cbranch_execz .LBB7_23
; %bb.8:
	v_subrev_u32_e32 v8, s17, v6
	s_mov_b64 s[24:25], 0
	v_mov_b32_e32 v7, 0
	v_mov_b32_e32 v9, s23
	;; [unrolled: 1-line block ×3, first 2 shown]
	s_movk_i32 s9, 0x4f
	v_mov_b32_e32 v11, -1
	s_branch .LBB7_11
.LBB7_9:                                ;   in Loop: Header=BB7_11 Depth=1
	s_or_b64 exec, exec, s[28:29]
.LBB7_10:                               ;   in Loop: Header=BB7_11 Depth=1
	s_or_b64 exec, exec, s[26:27]
	v_add_u32_e32 v2, 16, v2
	v_cmp_le_i32_e32 vcc, s7, v2
	s_or_b64 s[24:25], vcc, s[24:25]
	s_andn2_b64 exec, exec, s[24:25]
	s_cbranch_execz .LBB7_22
.LBB7_11:                               ; =>This Loop Header: Depth=1
                                        ;     Child Loop BB7_14 Depth 2
                                        ;       Child Loop BB7_17 Depth 3
	v_ashrrev_i32_e32 v3, 31, v2
	v_lshlrev_b64 v[4:5], 2, v[2:3]
	v_add_co_u32_e32 v4, vcc, s22, v4
	v_addc_co_u32_e32 v5, vcc, v9, v5, vcc
	global_load_dword v3, v[4:5], off
	s_waitcnt vmcnt(0)
	v_subrev_u32_e32 v4, s16, v3
	v_ashrrev_i32_e32 v5, 31, v4
	v_lshlrev_b64 v[4:5], 2, v[4:5]
	v_add_co_u32_e32 v4, vcc, s8, v4
	v_addc_co_u32_e32 v5, vcc, v10, v5, vcc
	global_load_dwordx2 v[4:5], v[4:5], off
	s_waitcnt vmcnt(0)
	v_subrev_u32_e32 v3, s17, v5
	v_add_u32_e32 v4, v8, v4
	v_cmp_lt_i32_e32 vcc, v4, v3
	s_and_saveexec_b64 s[26:27], vcc
	s_cbranch_execz .LBB7_10
; %bb.12:                               ;   in Loop: Header=BB7_11 Depth=1
	s_mov_b64 s[28:29], 0
	s_branch .LBB7_14
.LBB7_13:                               ;   in Loop: Header=BB7_14 Depth=2
	s_or_b64 exec, exec, s[38:39]
	v_add_u32_e32 v4, 16, v4
	v_cndmask_b32_e64 v5, 0, 1, s[30:31]
	v_cmp_ge_i32_e32 vcc, v4, v3
	s_or_b64 s[28:29], vcc, s[28:29]
	v_add_u32_e32 v7, v7, v5
	s_andn2_b64 exec, exec, s[28:29]
	s_cbranch_execz .LBB7_9
.LBB7_14:                               ;   Parent Loop BB7_11 Depth=1
                                        ; =>  This Loop Header: Depth=2
                                        ;       Child Loop BB7_17 Depth 3
	v_ashrrev_i32_e32 v5, 31, v4
	v_lshlrev_b64 v[12:13], 2, v[4:5]
	v_mov_b32_e32 v5, s11
	v_add_co_u32_e32 v12, vcc, s10, v12
	v_addc_co_u32_e32 v13, vcc, v5, v13, vcc
	global_load_dword v5, v[12:13], off
	s_mov_b64 s[38:39], 0
                                        ; implicit-def: $sgpr30_sgpr31
                                        ; implicit-def: $sgpr34_sgpr35
                                        ; implicit-def: $sgpr36_sgpr37
                                        ; implicit-def: $sgpr40_sgpr41
	s_waitcnt vmcnt(0)
	v_subrev_u32_e32 v5, s17, v5
	v_mul_lo_u32 v12, v5, s9
	v_and_b32_e32 v12, 0x7ff, v12
	s_branch .LBB7_17
.LBB7_15:                               ;   in Loop: Header=BB7_17 Depth=3
	s_or_b64 exec, exec, s[46:47]
	s_andn2_b64 s[36:37], s[36:37], exec
	s_and_b64 s[40:41], s[44:45], exec
	s_andn2_b64 s[34:35], s[34:35], exec
	s_and_b64 s[0:1], s[0:1], exec
	s_or_b64 s[36:37], s[36:37], s[40:41]
	s_or_b64 s[34:35], s[34:35], s[0:1]
                                        ; implicit-def: $sgpr40_sgpr41
.LBB7_16:                               ;   in Loop: Header=BB7_17 Depth=3
	s_or_b64 exec, exec, s[42:43]
	s_xor_b64 s[0:1], s[34:35], -1
	s_and_b64 s[0:1], exec, s[0:1]
	s_or_b64 s[38:39], s[0:1], s[38:39]
	s_andn2_b64 s[0:1], s[40:41], exec
	s_and_b64 s[42:43], s[36:37], exec
	s_or_b64 s[40:41], s[0:1], s[42:43]
	s_andn2_b64 s[0:1], s[30:31], exec
	s_or_b64 s[30:31], s[0:1], s[42:43]
	s_andn2_b64 exec, exec, s[38:39]
	s_cbranch_execz .LBB7_13
.LBB7_17:                               ;   Parent Loop BB7_11 Depth=1
                                        ;     Parent Loop BB7_14 Depth=2
                                        ; =>    This Inner Loop Header: Depth=3
	v_lshl_add_u32 v13, v12, 2, 0
	ds_read_b32 v14, v13
	s_andn2_b64 s[36:37], s[36:37], exec
	s_andn2_b64 s[34:35], s[34:35], exec
	s_waitcnt lgkmcnt(0)
	v_cmp_ne_u32_e32 vcc, v14, v5
	s_and_saveexec_b64 s[42:43], vcc
	s_cbranch_execz .LBB7_16
; %bb.18:                               ;   in Loop: Header=BB7_17 Depth=3
	v_cmp_ne_u32_e32 vcc, -1, v14
                                        ; implicit-def: $sgpr44_sgpr45
                                        ; implicit-def: $sgpr0_sgpr1
	s_and_saveexec_b64 s[46:47], vcc
	s_xor_b64 s[46:47], exec, s[46:47]
; %bb.19:                               ;   in Loop: Header=BB7_17 Depth=3
	v_add_u32_e32 v12, 1, v12
	v_and_b32_e32 v12, 0x7ff, v12
	s_mov_b64 s[0:1], -1
	s_and_b64 s[44:45], s[40:41], exec
                                        ; implicit-def: $vgpr13
; %bb.20:                               ;   in Loop: Header=BB7_17 Depth=3
	s_andn2_saveexec_b64 s[46:47], s[46:47]
	s_cbranch_execz .LBB7_15
; %bb.21:                               ;   in Loop: Header=BB7_17 Depth=3
	ds_cmpst_rtn_b32 v13, v13, v11, v5
	s_andn2_b64 s[48:49], s[0:1], exec
	s_andn2_b64 s[44:45], s[44:45], exec
	s_waitcnt lgkmcnt(0)
	v_cmp_eq_u32_e64 s[0:1], -1, v13
	v_cmp_ne_u32_e32 vcc, -1, v13
	s_or_b64 s[40:41], s[0:1], s[40:41]
	s_and_b64 s[0:1], vcc, exec
	s_and_b64 s[40:41], s[40:41], exec
	s_or_b64 s[0:1], s[48:49], s[0:1]
	s_or_b64 s[44:45], s[44:45], s[40:41]
	s_branch .LBB7_15
.LBB7_22:
	s_or_b64 exec, exec, s[24:25]
.LBB7_23:
	s_or_b64 exec, exec, s[20:21]
.LBB7_24:
	s_load_dword s0, s[4:5], 0x54
	s_waitcnt lgkmcnt(0)
	s_bfe_u32 s0, s0, 0x10008
	s_cmp_eq_u32 s0, 0
	s_cbranch_scc1 .LBB7_38
; %bb.25:
	s_ashr_i32 s7, s6, 31
	s_lshl_b64 s[0:1], s[6:7], 2
	s_add_u32 s0, s12, s0
	s_addc_u32 s1, s13, s1
	s_load_dwordx2 s[0:1], s[0:1], 0x0
	v_subrev_u32_e32 v2, s18, v1
	s_waitcnt lgkmcnt(0)
	s_sub_i32 s7, s1, s18
	v_add_u32_e32 v2, s0, v2
	v_cmp_gt_i32_e32 vcc, s7, v2
	s_and_saveexec_b64 s[4:5], vcc
	s_cbranch_execz .LBB7_37
; %bb.26:
	s_mov_b64 s[8:9], 0
	v_mov_b32_e32 v4, s15
	s_movk_i32 s15, 0x4f
	v_mov_b32_e32 v5, -1
	s_branch .LBB7_28
.LBB7_27:                               ;   in Loop: Header=BB7_28 Depth=1
	s_or_b64 exec, exec, s[20:21]
	v_add_u32_e32 v2, 16, v2
	v_cndmask_b32_e64 v3, 0, 1, s[10:11]
	v_cmp_le_i32_e32 vcc, s7, v2
	s_or_b64 s[8:9], vcc, s[8:9]
	v_add_u32_e32 v7, v7, v3
	s_andn2_b64 exec, exec, s[8:9]
	s_cbranch_execz .LBB7_36
.LBB7_28:                               ; =>This Loop Header: Depth=1
                                        ;     Child Loop BB7_31 Depth 2
	v_ashrrev_i32_e32 v3, 31, v2
	v_lshlrev_b64 v[8:9], 2, v[2:3]
	v_add_co_u32_e32 v8, vcc, s14, v8
	v_addc_co_u32_e32 v9, vcc, v4, v9, vcc
	global_load_dword v3, v[8:9], off
	s_mov_b64 s[20:21], 0
                                        ; implicit-def: $sgpr10_sgpr11
                                        ; implicit-def: $sgpr12_sgpr13
                                        ; implicit-def: $sgpr16_sgpr17
                                        ; implicit-def: $sgpr22_sgpr23
	s_waitcnt vmcnt(0)
	v_subrev_u32_e32 v3, s18, v3
	v_mul_lo_u32 v8, v3, s15
	v_and_b32_e32 v8, 0x7ff, v8
	s_branch .LBB7_31
.LBB7_29:                               ;   in Loop: Header=BB7_31 Depth=2
	s_or_b64 exec, exec, s[28:29]
	s_andn2_b64 s[16:17], s[16:17], exec
	s_and_b64 s[22:23], s[26:27], exec
	s_andn2_b64 s[12:13], s[12:13], exec
	s_and_b64 s[0:1], s[0:1], exec
	s_or_b64 s[16:17], s[16:17], s[22:23]
	s_or_b64 s[12:13], s[12:13], s[0:1]
                                        ; implicit-def: $sgpr22_sgpr23
.LBB7_30:                               ;   in Loop: Header=BB7_31 Depth=2
	s_or_b64 exec, exec, s[24:25]
	s_xor_b64 s[0:1], s[12:13], -1
	s_and_b64 s[0:1], exec, s[0:1]
	s_or_b64 s[20:21], s[0:1], s[20:21]
	s_andn2_b64 s[0:1], s[22:23], exec
	s_and_b64 s[24:25], s[16:17], exec
	s_or_b64 s[22:23], s[0:1], s[24:25]
	s_andn2_b64 s[0:1], s[10:11], exec
	s_or_b64 s[10:11], s[0:1], s[24:25]
	s_andn2_b64 exec, exec, s[20:21]
	s_cbranch_execz .LBB7_27
.LBB7_31:                               ;   Parent Loop BB7_28 Depth=1
                                        ; =>  This Inner Loop Header: Depth=2
	v_lshl_add_u32 v9, v8, 2, 0
	ds_read_b32 v10, v9
	s_andn2_b64 s[16:17], s[16:17], exec
	s_andn2_b64 s[12:13], s[12:13], exec
	s_waitcnt lgkmcnt(0)
	v_cmp_ne_u32_e32 vcc, v10, v3
	s_and_saveexec_b64 s[24:25], vcc
	s_cbranch_execz .LBB7_30
; %bb.32:                               ;   in Loop: Header=BB7_31 Depth=2
	v_cmp_ne_u32_e32 vcc, -1, v10
                                        ; implicit-def: $sgpr26_sgpr27
                                        ; implicit-def: $sgpr0_sgpr1
	s_and_saveexec_b64 s[28:29], vcc
	s_xor_b64 s[28:29], exec, s[28:29]
; %bb.33:                               ;   in Loop: Header=BB7_31 Depth=2
	v_add_u32_e32 v8, 1, v8
	v_and_b32_e32 v8, 0x7ff, v8
	s_mov_b64 s[0:1], -1
	s_and_b64 s[26:27], s[22:23], exec
                                        ; implicit-def: $vgpr9
; %bb.34:                               ;   in Loop: Header=BB7_31 Depth=2
	s_andn2_saveexec_b64 s[28:29], s[28:29]
	s_cbranch_execz .LBB7_29
; %bb.35:                               ;   in Loop: Header=BB7_31 Depth=2
	ds_cmpst_rtn_b32 v9, v9, v5, v3
	s_andn2_b64 s[30:31], s[0:1], exec
	s_andn2_b64 s[26:27], s[26:27], exec
	s_waitcnt lgkmcnt(0)
	v_cmp_eq_u32_e64 s[0:1], -1, v9
	v_cmp_ne_u32_e32 vcc, -1, v9
	s_or_b64 s[22:23], s[0:1], s[22:23]
	s_and_b64 s[0:1], vcc, exec
	s_and_b64 s[22:23], s[22:23], exec
	s_or_b64 s[0:1], s[30:31], s[0:1]
	s_or_b64 s[26:27], s[26:27], s[22:23]
	s_branch .LBB7_29
.LBB7_36:
	s_or_b64 exec, exec, s[8:9]
.LBB7_37:
	s_or_b64 exec, exec, s[4:5]
.LBB7_38:
	v_mov_b32_dpp v2, v7 row_shr:1 row_mask:0xf bank_mask:0xf
	v_add_u32_e32 v2, v2, v7
	v_cmp_eq_u32_e32 vcc, 15, v6
	s_nop 0
	v_mov_b32_dpp v3, v2 row_shr:2 row_mask:0xf bank_mask:0xf
	v_add_u32_e32 v2, v2, v3
	s_barrier
	s_nop 0
	v_mov_b32_dpp v3, v2 row_shr:4 row_mask:0xf bank_mask:0xe
	v_add_u32_e32 v2, v2, v3
	s_nop 1
	v_mov_b32_dpp v3, v2 row_shr:8 row_mask:0xf bank_mask:0xc
	s_and_saveexec_b64 s[0:1], vcc
	s_cbranch_execz .LBB7_40
; %bb.39:
	v_lshl_add_u32 v1, v1, 2, 0
	v_add_u32_e32 v2, v2, v3
	ds_write_b32 v1, v2
.LBB7_40:
	s_or_b64 exec, exec, s[0:1]
	v_cmp_gt_u32_e32 vcc, 16, v0
	v_mov_b32_e32 v1, 0
	s_waitcnt lgkmcnt(0)
	s_barrier
	s_and_saveexec_b64 s[0:1], vcc
	s_cbranch_execz .LBB7_42
; %bb.41:
	v_lshl_add_u32 v1, v0, 2, 0
	ds_read_b32 v1, v1
.LBB7_42:
	s_or_b64 exec, exec, s[0:1]
	s_waitcnt lgkmcnt(0)
	v_mov_b32_dpp v2, v1 row_shr:1 row_mask:0xf bank_mask:0xf
	v_add_u32_e32 v1, v2, v1
	v_cmp_eq_u32_e32 vcc, 15, v0
	s_nop 0
	v_mov_b32_dpp v2, v1 row_shr:2 row_mask:0xf bank_mask:0xf
	v_add_u32_e32 v1, v1, v2
	s_nop 1
	v_mov_b32_dpp v2, v1 row_shr:4 row_mask:0xf bank_mask:0xe
	v_add_u32_e32 v1, v1, v2
	s_nop 1
	v_mov_b32_dpp v2, v1 row_shr:8 row_mask:0xf bank_mask:0xc
	s_and_saveexec_b64 s[0:1], vcc
	s_cbranch_execz .LBB7_44
; %bb.43:
	s_ashr_i32 s7, s6, 31
	s_lshl_b64 s[0:1], s[6:7], 2
	s_add_u32 s0, s2, s0
	s_addc_u32 s1, s3, s1
	v_mov_b32_e32 v0, 0
	v_add_u32_e32 v1, v1, v2
	global_store_dword v0, v1, s[0:1]
.LBB7_44:
	s_endpgm
	.section	.rodata,"a",@progbits
	.p2align	6, 0x0
	.amdhsa_kernel _ZN9rocsparseL25csrgemm_nnz_block_per_rowILj256ELj16ELj2048ELj79EiiEEvPKT4_S3_PKT3_S3_S6_S3_S6_S3_PS4_21rocsparse_index_base_S8_S8_bb
		.amdhsa_group_segment_fixed_size 0
		.amdhsa_private_segment_fixed_size 0
		.amdhsa_kernarg_size 88
		.amdhsa_user_sgpr_count 6
		.amdhsa_user_sgpr_private_segment_buffer 1
		.amdhsa_user_sgpr_dispatch_ptr 0
		.amdhsa_user_sgpr_queue_ptr 0
		.amdhsa_user_sgpr_kernarg_segment_ptr 1
		.amdhsa_user_sgpr_dispatch_id 0
		.amdhsa_user_sgpr_flat_scratch_init 0
		.amdhsa_user_sgpr_kernarg_preload_length 0
		.amdhsa_user_sgpr_kernarg_preload_offset 0
		.amdhsa_user_sgpr_private_segment_size 0
		.amdhsa_uses_dynamic_stack 0
		.amdhsa_system_sgpr_private_segment_wavefront_offset 0
		.amdhsa_system_sgpr_workgroup_id_x 1
		.amdhsa_system_sgpr_workgroup_id_y 0
		.amdhsa_system_sgpr_workgroup_id_z 0
		.amdhsa_system_sgpr_workgroup_info 0
		.amdhsa_system_vgpr_workitem_id 0
		.amdhsa_next_free_vgpr 15
		.amdhsa_next_free_sgpr 50
		.amdhsa_accum_offset 16
		.amdhsa_reserve_vcc 1
		.amdhsa_reserve_flat_scratch 0
		.amdhsa_float_round_mode_32 0
		.amdhsa_float_round_mode_16_64 0
		.amdhsa_float_denorm_mode_32 3
		.amdhsa_float_denorm_mode_16_64 3
		.amdhsa_dx10_clamp 1
		.amdhsa_ieee_mode 1
		.amdhsa_fp16_overflow 0
		.amdhsa_tg_split 0
		.amdhsa_exception_fp_ieee_invalid_op 0
		.amdhsa_exception_fp_denorm_src 0
		.amdhsa_exception_fp_ieee_div_zero 0
		.amdhsa_exception_fp_ieee_overflow 0
		.amdhsa_exception_fp_ieee_underflow 0
		.amdhsa_exception_fp_ieee_inexact 0
		.amdhsa_exception_int_div_zero 0
	.end_amdhsa_kernel
	.section	.text._ZN9rocsparseL25csrgemm_nnz_block_per_rowILj256ELj16ELj2048ELj79EiiEEvPKT4_S3_PKT3_S3_S6_S3_S6_S3_PS4_21rocsparse_index_base_S8_S8_bb,"axG",@progbits,_ZN9rocsparseL25csrgemm_nnz_block_per_rowILj256ELj16ELj2048ELj79EiiEEvPKT4_S3_PKT3_S3_S6_S3_S6_S3_PS4_21rocsparse_index_base_S8_S8_bb,comdat
.Lfunc_end7:
	.size	_ZN9rocsparseL25csrgemm_nnz_block_per_rowILj256ELj16ELj2048ELj79EiiEEvPKT4_S3_PKT3_S3_S6_S3_S6_S3_PS4_21rocsparse_index_base_S8_S8_bb, .Lfunc_end7-_ZN9rocsparseL25csrgemm_nnz_block_per_rowILj256ELj16ELj2048ELj79EiiEEvPKT4_S3_PKT3_S3_S6_S3_S6_S3_PS4_21rocsparse_index_base_S8_S8_bb
                                        ; -- End function
	.section	.AMDGPU.csdata,"",@progbits
; Kernel info:
; codeLenInByte = 1412
; NumSgprs: 54
; NumVgprs: 15
; NumAgprs: 0
; TotalNumVgprs: 15
; ScratchSize: 0
; MemoryBound: 0
; FloatMode: 240
; IeeeMode: 1
; LDSByteSize: 0 bytes/workgroup (compile time only)
; SGPRBlocks: 6
; VGPRBlocks: 1
; NumSGPRsForWavesPerEU: 54
; NumVGPRsForWavesPerEU: 15
; AccumOffset: 16
; Occupancy: 8
; WaveLimiterHint : 1
; COMPUTE_PGM_RSRC2:SCRATCH_EN: 0
; COMPUTE_PGM_RSRC2:USER_SGPR: 6
; COMPUTE_PGM_RSRC2:TRAP_HANDLER: 0
; COMPUTE_PGM_RSRC2:TGID_X_EN: 1
; COMPUTE_PGM_RSRC2:TGID_Y_EN: 0
; COMPUTE_PGM_RSRC2:TGID_Z_EN: 0
; COMPUTE_PGM_RSRC2:TIDIG_COMP_CNT: 0
; COMPUTE_PGM_RSRC3_GFX90A:ACCUM_OFFSET: 3
; COMPUTE_PGM_RSRC3_GFX90A:TG_SPLIT: 0
	.section	.text._ZN9rocsparseL25csrgemm_nnz_block_per_rowILj512ELj16ELj4096ELj79EiiEEvPKT4_S3_PKT3_S3_S6_S3_S6_S3_PS4_21rocsparse_index_base_S8_S8_bb,"axG",@progbits,_ZN9rocsparseL25csrgemm_nnz_block_per_rowILj512ELj16ELj4096ELj79EiiEEvPKT4_S3_PKT3_S3_S6_S3_S6_S3_PS4_21rocsparse_index_base_S8_S8_bb,comdat
	.globl	_ZN9rocsparseL25csrgemm_nnz_block_per_rowILj512ELj16ELj4096ELj79EiiEEvPKT4_S3_PKT3_S3_S6_S3_S6_S3_PS4_21rocsparse_index_base_S8_S8_bb ; -- Begin function _ZN9rocsparseL25csrgemm_nnz_block_per_rowILj512ELj16ELj4096ELj79EiiEEvPKT4_S3_PKT3_S3_S6_S3_S6_S3_PS4_21rocsparse_index_base_S8_S8_bb
	.p2align	8
	.type	_ZN9rocsparseL25csrgemm_nnz_block_per_rowILj512ELj16ELj4096ELj79EiiEEvPKT4_S3_PKT3_S3_S6_S3_S6_S3_PS4_21rocsparse_index_base_S8_S8_bb,@function
_ZN9rocsparseL25csrgemm_nnz_block_per_rowILj512ELj16ELj4096ELj79EiiEEvPKT4_S3_PKT3_S3_S6_S3_S6_S3_PS4_21rocsparse_index_base_S8_S8_bb: ; @_ZN9rocsparseL25csrgemm_nnz_block_per_rowILj512ELj16ELj4096ELj79EiiEEvPKT4_S3_PKT3_S3_S6_S3_S6_S3_PS4_21rocsparse_index_base_S8_S8_bb
; %bb.0:
	s_load_dwordx4 s[0:3], s[4:5], 0x0
	v_lshl_add_u32 v1, v0, 2, 0
	v_mov_b32_e32 v2, -1
	s_waitcnt lgkmcnt(0)
	s_load_dword s0, s[0:1], 0x0
	s_mov_b32 s1, 0
	s_waitcnt lgkmcnt(0)
	s_add_i32 s0, s0, s6
	s_lshl_b64 s[0:1], s[0:1], 2
	s_add_u32 s0, s2, s0
	s_addc_u32 s1, s3, s1
	s_load_dword s2, s[0:1], 0x0
	s_mov_b64 s[0:1], -1
	ds_write2st64_b32 v1, v2, v2 offset1:8
	ds_write2st64_b32 v1, v2, v2 offset0:16 offset1:24
	s_and_saveexec_b64 s[6:7], s[0:1]
	s_cbranch_execz .LBB8_2
; %bb.1:
	ds_write_b32 v1, v2 offset:8192
.LBB8_2:
	s_or_b64 exec, exec, s[6:7]
	s_and_saveexec_b64 s[6:7], s[0:1]
	s_cbranch_execz .LBB8_4
; %bb.3:
	v_mov_b32_e32 v2, -1
	ds_write_b32 v1, v2 offset:10240
.LBB8_4:
	s_or_b64 exec, exec, s[6:7]
	v_cmp_gt_u32_e64 s[0:1], 7, 6
	v_cmp_gt_u32_e64 s[8:9], 7, 5
	s_and_saveexec_b64 s[6:7], s[8:9]
	s_cbranch_execz .LBB8_6
; %bb.5:
	v_mov_b32_e32 v2, -1
	ds_write_b32 v1, v2 offset:12288
.LBB8_6:
	s_or_b64 exec, exec, s[6:7]
	s_and_saveexec_b64 s[6:7], s[0:1]
	s_cbranch_execz .LBB8_8
; %bb.7:
	v_mov_b32_e32 v2, -1
	ds_write_b32 v1, v2 offset:14336
.LBB8_8:
	s_or_b64 exec, exec, s[6:7]
	s_load_dwordx4 s[8:11], s[4:5], 0x48
	v_and_b32_e32 v7, 15, v0
	v_lshrrev_b32_e32 v6, 4, v0
	v_mov_b32_e32 v8, 0
	s_waitcnt lgkmcnt(0)
	s_bitcmp0_b32 s11, 0
	s_barrier
	s_cbranch_scc1 .LBB8_26
; %bb.9:
	s_load_dwordx2 s[0:1], s[4:5], 0x10
	s_ashr_i32 s3, s2, 31
	s_lshl_b64 s[6:7], s[2:3], 2
	v_subrev_u32_e32 v2, s8, v6
	v_mov_b32_e32 v8, 0
	s_waitcnt lgkmcnt(0)
	s_add_u32 s0, s0, s6
	s_addc_u32 s1, s1, s7
	s_load_dwordx2 s[0:1], s[0:1], 0x0
	s_waitcnt lgkmcnt(0)
	s_sub_i32 s3, s1, s8
	v_add_u32_e32 v2, s0, v2
	v_cmp_gt_i32_e32 vcc, s3, v2
	s_and_saveexec_b64 s[6:7], vcc
	s_cbranch_execz .LBB8_25
; %bb.10:
	s_load_dwordx4 s[12:15], s[4:5], 0x18
	s_load_dwordx2 s[16:17], s[4:5], 0x28
	v_subrev_u32_e32 v9, s9, v7
	s_mov_b64 s[18:19], 0
	v_mov_b32_e32 v8, 0
	s_waitcnt lgkmcnt(0)
	v_mov_b32_e32 v10, s13
	v_mov_b32_e32 v11, s15
	s_movk_i32 s11, 0x4f
	v_mov_b32_e32 v12, -1
	s_branch .LBB8_13
.LBB8_11:                               ;   in Loop: Header=BB8_13 Depth=1
	s_or_b64 exec, exec, s[22:23]
.LBB8_12:                               ;   in Loop: Header=BB8_13 Depth=1
	s_or_b64 exec, exec, s[20:21]
	v_add_u32_e32 v2, 32, v2
	v_cmp_le_i32_e32 vcc, s3, v2
	s_or_b64 s[18:19], vcc, s[18:19]
	s_andn2_b64 exec, exec, s[18:19]
	s_cbranch_execz .LBB8_24
.LBB8_13:                               ; =>This Loop Header: Depth=1
                                        ;     Child Loop BB8_16 Depth 2
                                        ;       Child Loop BB8_19 Depth 3
	v_ashrrev_i32_e32 v3, 31, v2
	v_lshlrev_b64 v[4:5], 2, v[2:3]
	v_add_co_u32_e32 v4, vcc, s12, v4
	v_addc_co_u32_e32 v5, vcc, v10, v5, vcc
	global_load_dword v3, v[4:5], off
	s_waitcnt vmcnt(0)
	v_subrev_u32_e32 v4, s8, v3
	v_ashrrev_i32_e32 v5, 31, v4
	v_lshlrev_b64 v[4:5], 2, v[4:5]
	v_add_co_u32_e32 v4, vcc, s14, v4
	v_addc_co_u32_e32 v5, vcc, v11, v5, vcc
	global_load_dwordx2 v[4:5], v[4:5], off
	s_waitcnt vmcnt(0)
	v_subrev_u32_e32 v3, s9, v5
	v_add_u32_e32 v4, v9, v4
	v_cmp_lt_i32_e32 vcc, v4, v3
	s_and_saveexec_b64 s[20:21], vcc
	s_cbranch_execz .LBB8_12
; %bb.14:                               ;   in Loop: Header=BB8_13 Depth=1
	s_mov_b64 s[22:23], 0
	s_branch .LBB8_16
.LBB8_15:                               ;   in Loop: Header=BB8_16 Depth=2
	s_or_b64 exec, exec, s[30:31]
	v_add_u32_e32 v4, 16, v4
	v_cndmask_b32_e64 v5, 0, 1, s[24:25]
	v_cmp_ge_i32_e32 vcc, v4, v3
	s_or_b64 s[22:23], vcc, s[22:23]
	v_add_u32_e32 v8, v8, v5
	s_andn2_b64 exec, exec, s[22:23]
	s_cbranch_execz .LBB8_11
.LBB8_16:                               ;   Parent Loop BB8_13 Depth=1
                                        ; =>  This Loop Header: Depth=2
                                        ;       Child Loop BB8_19 Depth 3
	v_ashrrev_i32_e32 v5, 31, v4
	v_lshlrev_b64 v[14:15], 2, v[4:5]
	v_mov_b32_e32 v5, s17
	v_add_co_u32_e32 v14, vcc, s16, v14
	v_addc_co_u32_e32 v15, vcc, v5, v15, vcc
	global_load_dword v5, v[14:15], off
	s_mov_b64 s[30:31], 0
                                        ; implicit-def: $sgpr24_sgpr25
                                        ; implicit-def: $sgpr26_sgpr27
                                        ; implicit-def: $sgpr28_sgpr29
                                        ; implicit-def: $sgpr34_sgpr35
	s_waitcnt vmcnt(0)
	v_subrev_u32_e32 v5, s9, v5
	v_mul_lo_u32 v13, v5, s11
	v_and_b32_e32 v13, 0xfff, v13
	s_branch .LBB8_19
.LBB8_17:                               ;   in Loop: Header=BB8_19 Depth=3
	s_or_b64 exec, exec, s[40:41]
	s_andn2_b64 s[28:29], s[28:29], exec
	s_and_b64 s[34:35], s[38:39], exec
	s_andn2_b64 s[26:27], s[26:27], exec
	s_and_b64 s[0:1], s[0:1], exec
	s_or_b64 s[28:29], s[28:29], s[34:35]
	s_or_b64 s[26:27], s[26:27], s[0:1]
                                        ; implicit-def: $sgpr34_sgpr35
.LBB8_18:                               ;   in Loop: Header=BB8_19 Depth=3
	s_or_b64 exec, exec, s[36:37]
	s_xor_b64 s[0:1], s[26:27], -1
	s_and_b64 s[0:1], exec, s[0:1]
	s_or_b64 s[30:31], s[0:1], s[30:31]
	s_andn2_b64 s[0:1], s[34:35], exec
	s_and_b64 s[36:37], s[28:29], exec
	s_or_b64 s[34:35], s[0:1], s[36:37]
	s_andn2_b64 s[0:1], s[24:25], exec
	s_or_b64 s[24:25], s[0:1], s[36:37]
	s_andn2_b64 exec, exec, s[30:31]
	s_cbranch_execz .LBB8_15
.LBB8_19:                               ;   Parent Loop BB8_13 Depth=1
                                        ;     Parent Loop BB8_16 Depth=2
                                        ; =>    This Inner Loop Header: Depth=3
	v_lshl_add_u32 v14, v13, 2, 0
	ds_read_b32 v15, v14
	s_andn2_b64 s[28:29], s[28:29], exec
	s_andn2_b64 s[26:27], s[26:27], exec
	s_waitcnt lgkmcnt(0)
	v_cmp_ne_u32_e32 vcc, v15, v5
	s_and_saveexec_b64 s[36:37], vcc
	s_cbranch_execz .LBB8_18
; %bb.20:                               ;   in Loop: Header=BB8_19 Depth=3
	v_cmp_ne_u32_e32 vcc, -1, v15
                                        ; implicit-def: $sgpr38_sgpr39
                                        ; implicit-def: $sgpr0_sgpr1
	s_and_saveexec_b64 s[40:41], vcc
	s_xor_b64 s[40:41], exec, s[40:41]
; %bb.21:                               ;   in Loop: Header=BB8_19 Depth=3
	v_add_u32_e32 v13, 1, v13
	v_and_b32_e32 v13, 0xfff, v13
	s_mov_b64 s[0:1], -1
	s_and_b64 s[38:39], s[34:35], exec
                                        ; implicit-def: $vgpr14
; %bb.22:                               ;   in Loop: Header=BB8_19 Depth=3
	s_andn2_saveexec_b64 s[40:41], s[40:41]
	s_cbranch_execz .LBB8_17
; %bb.23:                               ;   in Loop: Header=BB8_19 Depth=3
	ds_cmpst_rtn_b32 v14, v14, v12, v5
	s_andn2_b64 s[42:43], s[0:1], exec
	s_andn2_b64 s[38:39], s[38:39], exec
	s_waitcnt lgkmcnt(0)
	v_cmp_eq_u32_e64 s[0:1], -1, v14
	v_cmp_ne_u32_e32 vcc, -1, v14
	s_or_b64 s[34:35], s[0:1], s[34:35]
	s_and_b64 s[0:1], vcc, exec
	s_and_b64 s[34:35], s[34:35], exec
	s_or_b64 s[0:1], s[42:43], s[0:1]
	s_or_b64 s[38:39], s[38:39], s[34:35]
	s_branch .LBB8_17
.LBB8_24:
	s_or_b64 exec, exec, s[18:19]
.LBB8_25:
	s_or_b64 exec, exec, s[6:7]
.LBB8_26:
	s_load_dword s0, s[4:5], 0x54
	s_waitcnt lgkmcnt(0)
	s_bfe_u32 s0, s0, 0x10008
	s_cmp_eq_u32 s0, 0
	s_cbranch_scc1 .LBB8_40
; %bb.27:
	s_load_dwordx2 s[0:1], s[4:5], 0x30
	s_ashr_i32 s3, s2, 31
	s_lshl_b64 s[6:7], s[2:3], 2
	v_subrev_u32_e32 v2, s10, v6
	s_waitcnt lgkmcnt(0)
	s_add_u32 s0, s0, s6
	s_addc_u32 s1, s1, s7
	s_load_dwordx2 s[0:1], s[0:1], 0x0
	s_waitcnt lgkmcnt(0)
	s_sub_i32 s3, s1, s10
	v_add_u32_e32 v2, s0, v2
	v_cmp_gt_i32_e32 vcc, s3, v2
	s_and_saveexec_b64 s[6:7], vcc
	s_cbranch_execz .LBB8_39
; %bb.28:
	s_load_dwordx2 s[8:9], s[4:5], 0x38
	s_mov_b64 s[12:13], 0
	s_movk_i32 s11, 0x4f
	v_mov_b32_e32 v5, -1
	s_waitcnt lgkmcnt(0)
	v_mov_b32_e32 v4, s9
	s_branch .LBB8_30
.LBB8_29:                               ;   in Loop: Header=BB8_30 Depth=1
	s_or_b64 exec, exec, s[20:21]
	v_add_u32_e32 v2, 32, v2
	v_cndmask_b32_e64 v3, 0, 1, s[14:15]
	v_cmp_le_i32_e32 vcc, s3, v2
	s_or_b64 s[12:13], vcc, s[12:13]
	v_add_u32_e32 v8, v8, v3
	s_andn2_b64 exec, exec, s[12:13]
	s_cbranch_execz .LBB8_38
.LBB8_30:                               ; =>This Loop Header: Depth=1
                                        ;     Child Loop BB8_33 Depth 2
	v_ashrrev_i32_e32 v3, 31, v2
	v_lshlrev_b64 v[10:11], 2, v[2:3]
	v_add_co_u32_e32 v10, vcc, s8, v10
	v_addc_co_u32_e32 v11, vcc, v4, v11, vcc
	global_load_dword v3, v[10:11], off
	s_mov_b64 s[20:21], 0
                                        ; implicit-def: $sgpr14_sgpr15
                                        ; implicit-def: $sgpr16_sgpr17
                                        ; implicit-def: $sgpr18_sgpr19
                                        ; implicit-def: $sgpr22_sgpr23
	s_waitcnt vmcnt(0)
	v_subrev_u32_e32 v3, s10, v3
	v_mul_lo_u32 v9, v3, s11
	v_and_b32_e32 v9, 0xfff, v9
	s_branch .LBB8_33
.LBB8_31:                               ;   in Loop: Header=BB8_33 Depth=2
	s_or_b64 exec, exec, s[28:29]
	s_andn2_b64 s[18:19], s[18:19], exec
	s_and_b64 s[22:23], s[26:27], exec
	s_andn2_b64 s[16:17], s[16:17], exec
	s_and_b64 s[0:1], s[0:1], exec
	s_or_b64 s[18:19], s[18:19], s[22:23]
	s_or_b64 s[16:17], s[16:17], s[0:1]
                                        ; implicit-def: $sgpr22_sgpr23
.LBB8_32:                               ;   in Loop: Header=BB8_33 Depth=2
	s_or_b64 exec, exec, s[24:25]
	s_xor_b64 s[0:1], s[16:17], -1
	s_and_b64 s[0:1], exec, s[0:1]
	s_or_b64 s[20:21], s[0:1], s[20:21]
	s_andn2_b64 s[0:1], s[22:23], exec
	s_and_b64 s[24:25], s[18:19], exec
	s_or_b64 s[22:23], s[0:1], s[24:25]
	s_andn2_b64 s[0:1], s[14:15], exec
	s_or_b64 s[14:15], s[0:1], s[24:25]
	s_andn2_b64 exec, exec, s[20:21]
	s_cbranch_execz .LBB8_29
.LBB8_33:                               ;   Parent Loop BB8_30 Depth=1
                                        ; =>  This Inner Loop Header: Depth=2
	v_lshl_add_u32 v10, v9, 2, 0
	ds_read_b32 v11, v10
	s_andn2_b64 s[18:19], s[18:19], exec
	s_andn2_b64 s[16:17], s[16:17], exec
	s_waitcnt lgkmcnt(0)
	v_cmp_ne_u32_e32 vcc, v11, v3
	s_and_saveexec_b64 s[24:25], vcc
	s_cbranch_execz .LBB8_32
; %bb.34:                               ;   in Loop: Header=BB8_33 Depth=2
	v_cmp_ne_u32_e32 vcc, -1, v11
                                        ; implicit-def: $sgpr26_sgpr27
                                        ; implicit-def: $sgpr0_sgpr1
	s_and_saveexec_b64 s[28:29], vcc
	s_xor_b64 s[28:29], exec, s[28:29]
; %bb.35:                               ;   in Loop: Header=BB8_33 Depth=2
	v_add_u32_e32 v9, 1, v9
	v_and_b32_e32 v9, 0xfff, v9
	s_mov_b64 s[0:1], -1
	s_and_b64 s[26:27], s[22:23], exec
                                        ; implicit-def: $vgpr10
; %bb.36:                               ;   in Loop: Header=BB8_33 Depth=2
	s_andn2_saveexec_b64 s[28:29], s[28:29]
	s_cbranch_execz .LBB8_31
; %bb.37:                               ;   in Loop: Header=BB8_33 Depth=2
	ds_cmpst_rtn_b32 v10, v10, v5, v3
	s_andn2_b64 s[30:31], s[0:1], exec
	s_andn2_b64 s[26:27], s[26:27], exec
	s_waitcnt lgkmcnt(0)
	v_cmp_eq_u32_e64 s[0:1], -1, v10
	v_cmp_ne_u32_e32 vcc, -1, v10
	s_or_b64 s[22:23], s[0:1], s[22:23]
	s_and_b64 s[0:1], vcc, exec
	s_and_b64 s[22:23], s[22:23], exec
	s_or_b64 s[0:1], s[30:31], s[0:1]
	s_or_b64 s[26:27], s[26:27], s[22:23]
	s_branch .LBB8_31
.LBB8_38:
	s_or_b64 exec, exec, s[12:13]
.LBB8_39:
	s_or_b64 exec, exec, s[6:7]
.LBB8_40:
	v_mov_b32_dpp v2, v8 row_shr:1 row_mask:0xf bank_mask:0xf
	v_add_u32_e32 v2, v2, v8
	v_cmp_eq_u32_e32 vcc, 15, v7
	s_nop 0
	v_mov_b32_dpp v3, v2 row_shr:2 row_mask:0xf bank_mask:0xf
	v_add_u32_e32 v2, v2, v3
	s_barrier
	s_nop 0
	v_mov_b32_dpp v3, v2 row_shr:4 row_mask:0xf bank_mask:0xe
	v_add_u32_e32 v2, v2, v3
	s_nop 1
	v_mov_b32_dpp v3, v2 row_shr:8 row_mask:0xf bank_mask:0xc
	s_and_saveexec_b64 s[0:1], vcc
	s_cbranch_execz .LBB8_42
; %bb.41:
	v_lshl_add_u32 v4, v6, 2, 0
	v_add_u32_e32 v2, v2, v3
	ds_write_b32 v4, v2
.LBB8_42:
	s_or_b64 exec, exec, s[0:1]
	v_cmp_gt_u32_e32 vcc, 32, v0
	v_mov_b32_e32 v2, 0
	s_waitcnt lgkmcnt(0)
	s_barrier
	s_and_saveexec_b64 s[0:1], vcc
	s_cbranch_execz .LBB8_44
; %bb.43:
	ds_read_b32 v2, v1
.LBB8_44:
	s_or_b64 exec, exec, s[0:1]
	s_waitcnt lgkmcnt(0)
	v_mov_b32_dpp v1, v2 row_shr:1 row_mask:0xf bank_mask:0xf
	v_add_u32_e32 v1, v1, v2
	v_cmp_eq_u32_e32 vcc, 31, v0
	s_nop 0
	v_mov_b32_dpp v2, v1 row_shr:2 row_mask:0xf bank_mask:0xf
	v_add_u32_e32 v1, v1, v2
	s_nop 1
	v_mov_b32_dpp v2, v1 row_shr:4 row_mask:0xf bank_mask:0xe
	v_add_u32_e32 v1, v1, v2
	s_nop 1
	v_mov_b32_dpp v2, v1 row_shr:8 row_mask:0xf bank_mask:0xc
	v_add_u32_e32 v1, v1, v2
	s_nop 1
	v_mov_b32_dpp v2, v1 row_bcast:15 row_mask:0xa bank_mask:0xf
	s_and_saveexec_b64 s[0:1], vcc
	s_cbranch_execz .LBB8_46
; %bb.45:
	s_load_dwordx2 s[0:1], s[4:5], 0x40
	s_ashr_i32 s3, s2, 31
	s_lshl_b64 s[2:3], s[2:3], 2
	v_mov_b32_e32 v0, 0
	v_add_u32_e32 v1, v1, v2
	s_waitcnt lgkmcnt(0)
	s_add_u32 s0, s0, s2
	s_addc_u32 s1, s1, s3
	global_store_dword v0, v1, s[0:1]
.LBB8_46:
	s_endpgm
	.section	.rodata,"a",@progbits
	.p2align	6, 0x0
	.amdhsa_kernel _ZN9rocsparseL25csrgemm_nnz_block_per_rowILj512ELj16ELj4096ELj79EiiEEvPKT4_S3_PKT3_S3_S6_S3_S6_S3_PS4_21rocsparse_index_base_S8_S8_bb
		.amdhsa_group_segment_fixed_size 0
		.amdhsa_private_segment_fixed_size 0
		.amdhsa_kernarg_size 88
		.amdhsa_user_sgpr_count 6
		.amdhsa_user_sgpr_private_segment_buffer 1
		.amdhsa_user_sgpr_dispatch_ptr 0
		.amdhsa_user_sgpr_queue_ptr 0
		.amdhsa_user_sgpr_kernarg_segment_ptr 1
		.amdhsa_user_sgpr_dispatch_id 0
		.amdhsa_user_sgpr_flat_scratch_init 0
		.amdhsa_user_sgpr_kernarg_preload_length 0
		.amdhsa_user_sgpr_kernarg_preload_offset 0
		.amdhsa_user_sgpr_private_segment_size 0
		.amdhsa_uses_dynamic_stack 0
		.amdhsa_system_sgpr_private_segment_wavefront_offset 0
		.amdhsa_system_sgpr_workgroup_id_x 1
		.amdhsa_system_sgpr_workgroup_id_y 0
		.amdhsa_system_sgpr_workgroup_id_z 0
		.amdhsa_system_sgpr_workgroup_info 0
		.amdhsa_system_vgpr_workitem_id 0
		.amdhsa_next_free_vgpr 16
		.amdhsa_next_free_sgpr 44
		.amdhsa_accum_offset 16
		.amdhsa_reserve_vcc 1
		.amdhsa_reserve_flat_scratch 0
		.amdhsa_float_round_mode_32 0
		.amdhsa_float_round_mode_16_64 0
		.amdhsa_float_denorm_mode_32 3
		.amdhsa_float_denorm_mode_16_64 3
		.amdhsa_dx10_clamp 1
		.amdhsa_ieee_mode 1
		.amdhsa_fp16_overflow 0
		.amdhsa_tg_split 0
		.amdhsa_exception_fp_ieee_invalid_op 0
		.amdhsa_exception_fp_denorm_src 0
		.amdhsa_exception_fp_ieee_div_zero 0
		.amdhsa_exception_fp_ieee_overflow 0
		.amdhsa_exception_fp_ieee_underflow 0
		.amdhsa_exception_fp_ieee_inexact 0
		.amdhsa_exception_int_div_zero 0
	.end_amdhsa_kernel
	.section	.text._ZN9rocsparseL25csrgemm_nnz_block_per_rowILj512ELj16ELj4096ELj79EiiEEvPKT4_S3_PKT3_S3_S6_S3_S6_S3_PS4_21rocsparse_index_base_S8_S8_bb,"axG",@progbits,_ZN9rocsparseL25csrgemm_nnz_block_per_rowILj512ELj16ELj4096ELj79EiiEEvPKT4_S3_PKT3_S3_S6_S3_S6_S3_PS4_21rocsparse_index_base_S8_S8_bb,comdat
.Lfunc_end8:
	.size	_ZN9rocsparseL25csrgemm_nnz_block_per_rowILj512ELj16ELj4096ELj79EiiEEvPKT4_S3_PKT3_S3_S6_S3_S6_S3_PS4_21rocsparse_index_base_S8_S8_bb, .Lfunc_end8-_ZN9rocsparseL25csrgemm_nnz_block_per_rowILj512ELj16ELj4096ELj79EiiEEvPKT4_S3_PKT3_S3_S6_S3_S6_S3_PS4_21rocsparse_index_base_S8_S8_bb
                                        ; -- End function
	.section	.AMDGPU.csdata,"",@progbits
; Kernel info:
; codeLenInByte = 1492
; NumSgprs: 48
; NumVgprs: 16
; NumAgprs: 0
; TotalNumVgprs: 16
; ScratchSize: 0
; MemoryBound: 0
; FloatMode: 240
; IeeeMode: 1
; LDSByteSize: 0 bytes/workgroup (compile time only)
; SGPRBlocks: 5
; VGPRBlocks: 1
; NumSGPRsForWavesPerEU: 48
; NumVGPRsForWavesPerEU: 16
; AccumOffset: 16
; Occupancy: 8
; WaveLimiterHint : 1
; COMPUTE_PGM_RSRC2:SCRATCH_EN: 0
; COMPUTE_PGM_RSRC2:USER_SGPR: 6
; COMPUTE_PGM_RSRC2:TRAP_HANDLER: 0
; COMPUTE_PGM_RSRC2:TGID_X_EN: 1
; COMPUTE_PGM_RSRC2:TGID_Y_EN: 0
; COMPUTE_PGM_RSRC2:TGID_Z_EN: 0
; COMPUTE_PGM_RSRC2:TIDIG_COMP_CNT: 0
; COMPUTE_PGM_RSRC3_GFX90A:ACCUM_OFFSET: 3
; COMPUTE_PGM_RSRC3_GFX90A:TG_SPLIT: 0
	.section	.text._ZN9rocsparseL25csrgemm_nnz_block_per_rowILj1024ELj32ELj8192ELj79EiiEEvPKT4_S3_PKT3_S3_S6_S3_S6_S3_PS4_21rocsparse_index_base_S8_S8_bb,"axG",@progbits,_ZN9rocsparseL25csrgemm_nnz_block_per_rowILj1024ELj32ELj8192ELj79EiiEEvPKT4_S3_PKT3_S3_S6_S3_S6_S3_PS4_21rocsparse_index_base_S8_S8_bb,comdat
	.globl	_ZN9rocsparseL25csrgemm_nnz_block_per_rowILj1024ELj32ELj8192ELj79EiiEEvPKT4_S3_PKT3_S3_S6_S3_S6_S3_PS4_21rocsparse_index_base_S8_S8_bb ; -- Begin function _ZN9rocsparseL25csrgemm_nnz_block_per_rowILj1024ELj32ELj8192ELj79EiiEEvPKT4_S3_PKT3_S3_S6_S3_S6_S3_PS4_21rocsparse_index_base_S8_S8_bb
	.p2align	8
	.type	_ZN9rocsparseL25csrgemm_nnz_block_per_rowILj1024ELj32ELj8192ELj79EiiEEvPKT4_S3_PKT3_S3_S6_S3_S6_S3_PS4_21rocsparse_index_base_S8_S8_bb,@function
_ZN9rocsparseL25csrgemm_nnz_block_per_rowILj1024ELj32ELj8192ELj79EiiEEvPKT4_S3_PKT3_S3_S6_S3_S6_S3_PS4_21rocsparse_index_base_S8_S8_bb: ; @_ZN9rocsparseL25csrgemm_nnz_block_per_rowILj1024ELj32ELj8192ELj79EiiEEvPKT4_S3_PKT3_S3_S6_S3_S6_S3_PS4_21rocsparse_index_base_S8_S8_bb
; %bb.0:
	s_load_dwordx4 s[0:3], s[4:5], 0x0
	s_mov_b32 s7, 0
	v_mov_b32_e32 v8, 0
	v_mov_b32_e32 v2, -1
	s_load_dwordx4 s[8:11], s[4:5], 0x48
	s_waitcnt lgkmcnt(0)
	s_load_dword s12, s[0:1], 0x0
	v_and_b32_e32 v6, 31, v0
	v_lshl_add_u32 v1, v0, 2, 0
	v_lshrrev_b32_e32 v7, 5, v0
	s_waitcnt lgkmcnt(0)
	s_add_i32 s6, s12, s6
	s_lshl_b64 s[0:1], s[6:7], 2
	s_add_u32 s0, s2, s0
	s_addc_u32 s1, s3, s1
	s_load_dword s2, s[0:1], 0x0
	s_bitcmp0_b32 s11, 0
	ds_write2st64_b32 v1, v2, v2 offset1:16
	ds_write2st64_b32 v1, v2, v2 offset0:32 offset1:48
	ds_write2st64_b32 v1, v2, v2 offset0:64 offset1:80
	;; [unrolled: 1-line block ×3, first 2 shown]
	s_waitcnt lgkmcnt(0)
	s_barrier
	s_cbranch_scc1 .LBB9_18
; %bb.1:
	s_load_dwordx2 s[0:1], s[4:5], 0x10
	s_ashr_i32 s3, s2, 31
	s_lshl_b64 s[6:7], s[2:3], 2
	v_subrev_u32_e32 v2, s8, v7
	v_mov_b32_e32 v8, 0
	s_waitcnt lgkmcnt(0)
	s_add_u32 s0, s0, s6
	s_addc_u32 s1, s1, s7
	s_load_dwordx2 s[0:1], s[0:1], 0x0
	s_waitcnt lgkmcnt(0)
	s_sub_i32 s3, s1, s8
	v_add_u32_e32 v2, s0, v2
	v_cmp_gt_i32_e32 vcc, s3, v2
	s_and_saveexec_b64 s[6:7], vcc
	s_cbranch_execz .LBB9_17
; %bb.2:
	s_load_dwordx4 s[12:15], s[4:5], 0x18
	s_load_dwordx2 s[16:17], s[4:5], 0x28
	v_subrev_u32_e32 v9, s9, v6
	s_mov_b64 s[18:19], 0
	v_mov_b32_e32 v8, 0
	s_waitcnt lgkmcnt(0)
	v_mov_b32_e32 v10, s13
	v_mov_b32_e32 v11, s15
	s_movk_i32 s11, 0x4f
	v_mov_b32_e32 v12, -1
	s_branch .LBB9_5
.LBB9_3:                                ;   in Loop: Header=BB9_5 Depth=1
	s_or_b64 exec, exec, s[22:23]
.LBB9_4:                                ;   in Loop: Header=BB9_5 Depth=1
	s_or_b64 exec, exec, s[20:21]
	v_add_u32_e32 v2, 32, v2
	v_cmp_le_i32_e32 vcc, s3, v2
	s_or_b64 s[18:19], vcc, s[18:19]
	s_andn2_b64 exec, exec, s[18:19]
	s_cbranch_execz .LBB9_16
.LBB9_5:                                ; =>This Loop Header: Depth=1
                                        ;     Child Loop BB9_8 Depth 2
                                        ;       Child Loop BB9_11 Depth 3
	v_ashrrev_i32_e32 v3, 31, v2
	v_lshlrev_b64 v[4:5], 2, v[2:3]
	v_add_co_u32_e32 v4, vcc, s12, v4
	v_addc_co_u32_e32 v5, vcc, v10, v5, vcc
	global_load_dword v3, v[4:5], off
	s_waitcnt vmcnt(0)
	v_subrev_u32_e32 v4, s8, v3
	v_ashrrev_i32_e32 v5, 31, v4
	v_lshlrev_b64 v[4:5], 2, v[4:5]
	v_add_co_u32_e32 v4, vcc, s14, v4
	v_addc_co_u32_e32 v5, vcc, v11, v5, vcc
	global_load_dwordx2 v[4:5], v[4:5], off
	s_waitcnt vmcnt(0)
	v_subrev_u32_e32 v3, s9, v5
	v_add_u32_e32 v4, v9, v4
	v_cmp_lt_i32_e32 vcc, v4, v3
	s_and_saveexec_b64 s[20:21], vcc
	s_cbranch_execz .LBB9_4
; %bb.6:                                ;   in Loop: Header=BB9_5 Depth=1
	s_mov_b64 s[22:23], 0
	s_branch .LBB9_8
.LBB9_7:                                ;   in Loop: Header=BB9_8 Depth=2
	s_or_b64 exec, exec, s[30:31]
	v_add_u32_e32 v4, 32, v4
	v_cndmask_b32_e64 v5, 0, 1, s[24:25]
	v_cmp_ge_i32_e32 vcc, v4, v3
	s_or_b64 s[22:23], vcc, s[22:23]
	v_add_u32_e32 v8, v8, v5
	s_andn2_b64 exec, exec, s[22:23]
	s_cbranch_execz .LBB9_3
.LBB9_8:                                ;   Parent Loop BB9_5 Depth=1
                                        ; =>  This Loop Header: Depth=2
                                        ;       Child Loop BB9_11 Depth 3
	v_ashrrev_i32_e32 v5, 31, v4
	v_lshlrev_b64 v[14:15], 2, v[4:5]
	v_mov_b32_e32 v5, s17
	v_add_co_u32_e32 v14, vcc, s16, v14
	v_addc_co_u32_e32 v15, vcc, v5, v15, vcc
	global_load_dword v5, v[14:15], off
	s_mov_b64 s[30:31], 0
                                        ; implicit-def: $sgpr24_sgpr25
                                        ; implicit-def: $sgpr26_sgpr27
                                        ; implicit-def: $sgpr28_sgpr29
                                        ; implicit-def: $sgpr34_sgpr35
	s_waitcnt vmcnt(0)
	v_subrev_u32_e32 v5, s9, v5
	v_mul_lo_u32 v13, v5, s11
	v_and_b32_e32 v13, 0x1fff, v13
	s_branch .LBB9_11
.LBB9_9:                                ;   in Loop: Header=BB9_11 Depth=3
	s_or_b64 exec, exec, s[40:41]
	s_andn2_b64 s[28:29], s[28:29], exec
	s_and_b64 s[34:35], s[38:39], exec
	s_andn2_b64 s[26:27], s[26:27], exec
	s_and_b64 s[0:1], s[0:1], exec
	s_or_b64 s[28:29], s[28:29], s[34:35]
	s_or_b64 s[26:27], s[26:27], s[0:1]
                                        ; implicit-def: $sgpr34_sgpr35
.LBB9_10:                               ;   in Loop: Header=BB9_11 Depth=3
	s_or_b64 exec, exec, s[36:37]
	s_xor_b64 s[0:1], s[26:27], -1
	s_and_b64 s[0:1], exec, s[0:1]
	s_or_b64 s[30:31], s[0:1], s[30:31]
	s_andn2_b64 s[0:1], s[34:35], exec
	s_and_b64 s[36:37], s[28:29], exec
	s_or_b64 s[34:35], s[0:1], s[36:37]
	s_andn2_b64 s[0:1], s[24:25], exec
	s_or_b64 s[24:25], s[0:1], s[36:37]
	s_andn2_b64 exec, exec, s[30:31]
	s_cbranch_execz .LBB9_7
.LBB9_11:                               ;   Parent Loop BB9_5 Depth=1
                                        ;     Parent Loop BB9_8 Depth=2
                                        ; =>    This Inner Loop Header: Depth=3
	v_lshl_add_u32 v14, v13, 2, 0
	ds_read_b32 v15, v14
	s_andn2_b64 s[28:29], s[28:29], exec
	s_andn2_b64 s[26:27], s[26:27], exec
	s_waitcnt lgkmcnt(0)
	v_cmp_ne_u32_e32 vcc, v15, v5
	s_and_saveexec_b64 s[36:37], vcc
	s_cbranch_execz .LBB9_10
; %bb.12:                               ;   in Loop: Header=BB9_11 Depth=3
	v_cmp_ne_u32_e32 vcc, -1, v15
                                        ; implicit-def: $sgpr38_sgpr39
                                        ; implicit-def: $sgpr0_sgpr1
	s_and_saveexec_b64 s[40:41], vcc
	s_xor_b64 s[40:41], exec, s[40:41]
; %bb.13:                               ;   in Loop: Header=BB9_11 Depth=3
	v_add_u32_e32 v13, 1, v13
	v_and_b32_e32 v13, 0x1fff, v13
	s_mov_b64 s[0:1], -1
	s_and_b64 s[38:39], s[34:35], exec
                                        ; implicit-def: $vgpr14
; %bb.14:                               ;   in Loop: Header=BB9_11 Depth=3
	s_andn2_saveexec_b64 s[40:41], s[40:41]
	s_cbranch_execz .LBB9_9
; %bb.15:                               ;   in Loop: Header=BB9_11 Depth=3
	ds_cmpst_rtn_b32 v14, v14, v12, v5
	s_andn2_b64 s[42:43], s[0:1], exec
	s_andn2_b64 s[38:39], s[38:39], exec
	s_waitcnt lgkmcnt(0)
	v_cmp_eq_u32_e64 s[0:1], -1, v14
	v_cmp_ne_u32_e32 vcc, -1, v14
	s_or_b64 s[34:35], s[0:1], s[34:35]
	s_and_b64 s[0:1], vcc, exec
	s_and_b64 s[34:35], s[34:35], exec
	s_or_b64 s[0:1], s[42:43], s[0:1]
	s_or_b64 s[38:39], s[38:39], s[34:35]
	s_branch .LBB9_9
.LBB9_16:
	s_or_b64 exec, exec, s[18:19]
.LBB9_17:
	s_or_b64 exec, exec, s[6:7]
.LBB9_18:
	s_load_dword s0, s[4:5], 0x54
	s_waitcnt lgkmcnt(0)
	s_bfe_u32 s0, s0, 0x10008
	s_cmp_eq_u32 s0, 0
	s_cbranch_scc1 .LBB9_32
; %bb.19:
	s_load_dwordx2 s[0:1], s[4:5], 0x30
	s_ashr_i32 s3, s2, 31
	s_lshl_b64 s[6:7], s[2:3], 2
	v_subrev_u32_e32 v2, s10, v7
	s_waitcnt lgkmcnt(0)
	s_add_u32 s0, s0, s6
	s_addc_u32 s1, s1, s7
	s_load_dwordx2 s[0:1], s[0:1], 0x0
	s_waitcnt lgkmcnt(0)
	s_sub_i32 s3, s1, s10
	v_add_u32_e32 v2, s0, v2
	v_cmp_gt_i32_e32 vcc, s3, v2
	s_and_saveexec_b64 s[6:7], vcc
	s_cbranch_execz .LBB9_31
; %bb.20:
	s_load_dwordx2 s[8:9], s[4:5], 0x38
	s_mov_b64 s[12:13], 0
	s_movk_i32 s11, 0x4f
	v_mov_b32_e32 v5, -1
	s_waitcnt lgkmcnt(0)
	v_mov_b32_e32 v4, s9
	s_branch .LBB9_22
.LBB9_21:                               ;   in Loop: Header=BB9_22 Depth=1
	s_or_b64 exec, exec, s[20:21]
	v_add_u32_e32 v2, 32, v2
	v_cndmask_b32_e64 v3, 0, 1, s[14:15]
	v_cmp_le_i32_e32 vcc, s3, v2
	s_or_b64 s[12:13], vcc, s[12:13]
	v_add_u32_e32 v8, v8, v3
	s_andn2_b64 exec, exec, s[12:13]
	s_cbranch_execz .LBB9_30
.LBB9_22:                               ; =>This Loop Header: Depth=1
                                        ;     Child Loop BB9_25 Depth 2
	v_ashrrev_i32_e32 v3, 31, v2
	v_lshlrev_b64 v[10:11], 2, v[2:3]
	v_add_co_u32_e32 v10, vcc, s8, v10
	v_addc_co_u32_e32 v11, vcc, v4, v11, vcc
	global_load_dword v3, v[10:11], off
	s_mov_b64 s[20:21], 0
                                        ; implicit-def: $sgpr14_sgpr15
                                        ; implicit-def: $sgpr16_sgpr17
                                        ; implicit-def: $sgpr18_sgpr19
                                        ; implicit-def: $sgpr22_sgpr23
	s_waitcnt vmcnt(0)
	v_subrev_u32_e32 v3, s10, v3
	v_mul_lo_u32 v9, v3, s11
	v_and_b32_e32 v9, 0x1fff, v9
	s_branch .LBB9_25
.LBB9_23:                               ;   in Loop: Header=BB9_25 Depth=2
	s_or_b64 exec, exec, s[28:29]
	s_andn2_b64 s[18:19], s[18:19], exec
	s_and_b64 s[22:23], s[26:27], exec
	s_andn2_b64 s[16:17], s[16:17], exec
	s_and_b64 s[0:1], s[0:1], exec
	s_or_b64 s[18:19], s[18:19], s[22:23]
	s_or_b64 s[16:17], s[16:17], s[0:1]
                                        ; implicit-def: $sgpr22_sgpr23
.LBB9_24:                               ;   in Loop: Header=BB9_25 Depth=2
	s_or_b64 exec, exec, s[24:25]
	s_xor_b64 s[0:1], s[16:17], -1
	s_and_b64 s[0:1], exec, s[0:1]
	s_or_b64 s[20:21], s[0:1], s[20:21]
	s_andn2_b64 s[0:1], s[22:23], exec
	s_and_b64 s[24:25], s[18:19], exec
	s_or_b64 s[22:23], s[0:1], s[24:25]
	s_andn2_b64 s[0:1], s[14:15], exec
	s_or_b64 s[14:15], s[0:1], s[24:25]
	s_andn2_b64 exec, exec, s[20:21]
	s_cbranch_execz .LBB9_21
.LBB9_25:                               ;   Parent Loop BB9_22 Depth=1
                                        ; =>  This Inner Loop Header: Depth=2
	v_lshl_add_u32 v10, v9, 2, 0
	ds_read_b32 v11, v10
	s_andn2_b64 s[18:19], s[18:19], exec
	s_andn2_b64 s[16:17], s[16:17], exec
	s_waitcnt lgkmcnt(0)
	v_cmp_ne_u32_e32 vcc, v11, v3
	s_and_saveexec_b64 s[24:25], vcc
	s_cbranch_execz .LBB9_24
; %bb.26:                               ;   in Loop: Header=BB9_25 Depth=2
	v_cmp_ne_u32_e32 vcc, -1, v11
                                        ; implicit-def: $sgpr26_sgpr27
                                        ; implicit-def: $sgpr0_sgpr1
	s_and_saveexec_b64 s[28:29], vcc
	s_xor_b64 s[28:29], exec, s[28:29]
; %bb.27:                               ;   in Loop: Header=BB9_25 Depth=2
	v_add_u32_e32 v9, 1, v9
	v_and_b32_e32 v9, 0x1fff, v9
	s_mov_b64 s[0:1], -1
	s_and_b64 s[26:27], s[22:23], exec
                                        ; implicit-def: $vgpr10
; %bb.28:                               ;   in Loop: Header=BB9_25 Depth=2
	s_andn2_saveexec_b64 s[28:29], s[28:29]
	s_cbranch_execz .LBB9_23
; %bb.29:                               ;   in Loop: Header=BB9_25 Depth=2
	ds_cmpst_rtn_b32 v10, v10, v5, v3
	s_andn2_b64 s[30:31], s[0:1], exec
	s_andn2_b64 s[26:27], s[26:27], exec
	s_waitcnt lgkmcnt(0)
	v_cmp_eq_u32_e64 s[0:1], -1, v10
	v_cmp_ne_u32_e32 vcc, -1, v10
	s_or_b64 s[22:23], s[0:1], s[22:23]
	s_and_b64 s[0:1], vcc, exec
	s_and_b64 s[22:23], s[22:23], exec
	s_or_b64 s[0:1], s[30:31], s[0:1]
	s_or_b64 s[26:27], s[26:27], s[22:23]
	s_branch .LBB9_23
.LBB9_30:
	s_or_b64 exec, exec, s[12:13]
.LBB9_31:
	s_or_b64 exec, exec, s[6:7]
.LBB9_32:
	v_mov_b32_dpp v2, v8 row_shr:1 row_mask:0xf bank_mask:0xf
	v_add_u32_e32 v2, v2, v8
	v_cmp_eq_u32_e32 vcc, 31, v6
	s_nop 0
	v_mov_b32_dpp v3, v2 row_shr:2 row_mask:0xf bank_mask:0xf
	v_add_u32_e32 v2, v2, v3
	s_barrier
	s_nop 0
	v_mov_b32_dpp v3, v2 row_shr:4 row_mask:0xf bank_mask:0xe
	v_add_u32_e32 v2, v2, v3
	s_nop 1
	v_mov_b32_dpp v3, v2 row_shr:8 row_mask:0xf bank_mask:0xc
	v_add_u32_e32 v2, v2, v3
	s_nop 1
	v_mov_b32_dpp v3, v2 row_bcast:15 row_mask:0xa bank_mask:0xf
	s_and_saveexec_b64 s[0:1], vcc
	s_cbranch_execz .LBB9_34
; %bb.33:
	v_lshl_add_u32 v4, v7, 2, 0
	v_add_u32_e32 v2, v2, v3
	ds_write_b32 v4, v2
.LBB9_34:
	s_or_b64 exec, exec, s[0:1]
	v_cmp_gt_u32_e32 vcc, 32, v0
	v_mov_b32_e32 v2, 0
	s_waitcnt lgkmcnt(0)
	s_barrier
	s_and_saveexec_b64 s[0:1], vcc
	s_cbranch_execz .LBB9_36
; %bb.35:
	ds_read_b32 v2, v1
.LBB9_36:
	s_or_b64 exec, exec, s[0:1]
	s_waitcnt lgkmcnt(0)
	v_mov_b32_dpp v1, v2 row_shr:1 row_mask:0xf bank_mask:0xf
	v_add_u32_e32 v1, v1, v2
	v_cmp_eq_u32_e32 vcc, 31, v0
	s_nop 0
	v_mov_b32_dpp v2, v1 row_shr:2 row_mask:0xf bank_mask:0xf
	v_add_u32_e32 v1, v1, v2
	s_nop 1
	v_mov_b32_dpp v2, v1 row_shr:4 row_mask:0xf bank_mask:0xe
	v_add_u32_e32 v1, v1, v2
	;; [unrolled: 3-line block ×3, first 2 shown]
	s_nop 1
	v_mov_b32_dpp v2, v1 row_bcast:15 row_mask:0xa bank_mask:0xf
	s_and_saveexec_b64 s[0:1], vcc
	s_cbranch_execz .LBB9_38
; %bb.37:
	s_load_dwordx2 s[0:1], s[4:5], 0x40
	s_ashr_i32 s3, s2, 31
	s_lshl_b64 s[2:3], s[2:3], 2
	v_mov_b32_e32 v0, 0
	v_add_u32_e32 v1, v1, v2
	s_waitcnt lgkmcnt(0)
	s_add_u32 s0, s0, s2
	s_addc_u32 s1, s1, s3
	global_store_dword v0, v1, s[0:1]
.LBB9_38:
	s_endpgm
	.section	.rodata,"a",@progbits
	.p2align	6, 0x0
	.amdhsa_kernel _ZN9rocsparseL25csrgemm_nnz_block_per_rowILj1024ELj32ELj8192ELj79EiiEEvPKT4_S3_PKT3_S3_S6_S3_S6_S3_PS4_21rocsparse_index_base_S8_S8_bb
		.amdhsa_group_segment_fixed_size 0
		.amdhsa_private_segment_fixed_size 0
		.amdhsa_kernarg_size 88
		.amdhsa_user_sgpr_count 6
		.amdhsa_user_sgpr_private_segment_buffer 1
		.amdhsa_user_sgpr_dispatch_ptr 0
		.amdhsa_user_sgpr_queue_ptr 0
		.amdhsa_user_sgpr_kernarg_segment_ptr 1
		.amdhsa_user_sgpr_dispatch_id 0
		.amdhsa_user_sgpr_flat_scratch_init 0
		.amdhsa_user_sgpr_kernarg_preload_length 0
		.amdhsa_user_sgpr_kernarg_preload_offset 0
		.amdhsa_user_sgpr_private_segment_size 0
		.amdhsa_uses_dynamic_stack 0
		.amdhsa_system_sgpr_private_segment_wavefront_offset 0
		.amdhsa_system_sgpr_workgroup_id_x 1
		.amdhsa_system_sgpr_workgroup_id_y 0
		.amdhsa_system_sgpr_workgroup_id_z 0
		.amdhsa_system_sgpr_workgroup_info 0
		.amdhsa_system_vgpr_workitem_id 0
		.amdhsa_next_free_vgpr 16
		.amdhsa_next_free_sgpr 44
		.amdhsa_accum_offset 16
		.amdhsa_reserve_vcc 1
		.amdhsa_reserve_flat_scratch 0
		.amdhsa_float_round_mode_32 0
		.amdhsa_float_round_mode_16_64 0
		.amdhsa_float_denorm_mode_32 3
		.amdhsa_float_denorm_mode_16_64 3
		.amdhsa_dx10_clamp 1
		.amdhsa_ieee_mode 1
		.amdhsa_fp16_overflow 0
		.amdhsa_tg_split 0
		.amdhsa_exception_fp_ieee_invalid_op 0
		.amdhsa_exception_fp_denorm_src 0
		.amdhsa_exception_fp_ieee_div_zero 0
		.amdhsa_exception_fp_ieee_overflow 0
		.amdhsa_exception_fp_ieee_underflow 0
		.amdhsa_exception_fp_ieee_inexact 0
		.amdhsa_exception_int_div_zero 0
	.end_amdhsa_kernel
	.section	.text._ZN9rocsparseL25csrgemm_nnz_block_per_rowILj1024ELj32ELj8192ELj79EiiEEvPKT4_S3_PKT3_S3_S6_S3_S6_S3_PS4_21rocsparse_index_base_S8_S8_bb,"axG",@progbits,_ZN9rocsparseL25csrgemm_nnz_block_per_rowILj1024ELj32ELj8192ELj79EiiEEvPKT4_S3_PKT3_S3_S6_S3_S6_S3_PS4_21rocsparse_index_base_S8_S8_bb,comdat
.Lfunc_end9:
	.size	_ZN9rocsparseL25csrgemm_nnz_block_per_rowILj1024ELj32ELj8192ELj79EiiEEvPKT4_S3_PKT3_S3_S6_S3_S6_S3_PS4_21rocsparse_index_base_S8_S8_bb, .Lfunc_end9-_ZN9rocsparseL25csrgemm_nnz_block_per_rowILj1024ELj32ELj8192ELj79EiiEEvPKT4_S3_PKT3_S3_S6_S3_S6_S3_PS4_21rocsparse_index_base_S8_S8_bb
                                        ; -- End function
	.section	.AMDGPU.csdata,"",@progbits
; Kernel info:
; codeLenInByte = 1412
; NumSgprs: 48
; NumVgprs: 16
; NumAgprs: 0
; TotalNumVgprs: 16
; ScratchSize: 0
; MemoryBound: 0
; FloatMode: 240
; IeeeMode: 1
; LDSByteSize: 0 bytes/workgroup (compile time only)
; SGPRBlocks: 5
; VGPRBlocks: 1
; NumSGPRsForWavesPerEU: 48
; NumVGPRsForWavesPerEU: 16
; AccumOffset: 16
; Occupancy: 8
; WaveLimiterHint : 1
; COMPUTE_PGM_RSRC2:SCRATCH_EN: 0
; COMPUTE_PGM_RSRC2:USER_SGPR: 6
; COMPUTE_PGM_RSRC2:TRAP_HANDLER: 0
; COMPUTE_PGM_RSRC2:TGID_X_EN: 1
; COMPUTE_PGM_RSRC2:TGID_Y_EN: 0
; COMPUTE_PGM_RSRC2:TGID_Z_EN: 0
; COMPUTE_PGM_RSRC2:TIDIG_COMP_CNT: 0
; COMPUTE_PGM_RSRC3_GFX90A:ACCUM_OFFSET: 3
; COMPUTE_PGM_RSRC3_GFX90A:TG_SPLIT: 0
	.section	.text._ZN9rocsparseL25csrgemm_nnz_block_per_rowILj1024ELj32ELj16384ELj79EiiEEvPKT4_S3_PKT3_S3_S6_S3_S6_S3_PS4_21rocsparse_index_base_S8_S8_bb,"axG",@progbits,_ZN9rocsparseL25csrgemm_nnz_block_per_rowILj1024ELj32ELj16384ELj79EiiEEvPKT4_S3_PKT3_S3_S6_S3_S6_S3_PS4_21rocsparse_index_base_S8_S8_bb,comdat
	.globl	_ZN9rocsparseL25csrgemm_nnz_block_per_rowILj1024ELj32ELj16384ELj79EiiEEvPKT4_S3_PKT3_S3_S6_S3_S6_S3_PS4_21rocsparse_index_base_S8_S8_bb ; -- Begin function _ZN9rocsparseL25csrgemm_nnz_block_per_rowILj1024ELj32ELj16384ELj79EiiEEvPKT4_S3_PKT3_S3_S6_S3_S6_S3_PS4_21rocsparse_index_base_S8_S8_bb
	.p2align	8
	.type	_ZN9rocsparseL25csrgemm_nnz_block_per_rowILj1024ELj32ELj16384ELj79EiiEEvPKT4_S3_PKT3_S3_S6_S3_S6_S3_PS4_21rocsparse_index_base_S8_S8_bb,@function
_ZN9rocsparseL25csrgemm_nnz_block_per_rowILj1024ELj32ELj16384ELj79EiiEEvPKT4_S3_PKT3_S3_S6_S3_S6_S3_PS4_21rocsparse_index_base_S8_S8_bb: ; @_ZN9rocsparseL25csrgemm_nnz_block_per_rowILj1024ELj32ELj16384ELj79EiiEEvPKT4_S3_PKT3_S3_S6_S3_S6_S3_PS4_21rocsparse_index_base_S8_S8_bb
; %bb.0:
	s_load_dwordx8 s[16:23], s[4:5], 0x0
	s_mov_b32 s1, 0
	v_or_b32_e32 v1, 0xfffffc00, v0
	v_lshl_add_u32 v2, v0, 2, 0
	v_mov_b32_e32 v3, -1
	s_waitcnt lgkmcnt(0)
	s_load_dword s0, s[16:17], 0x0
	s_load_dwordx2 s[2:3], s[4:5], 0x40
	s_load_dwordx8 s[8:15], s[4:5], 0x20
	s_movk_i32 s7, 0x3bff
	s_waitcnt lgkmcnt(0)
	s_add_i32 s0, s0, s6
	s_lshl_b64 s[0:1], s[0:1], 2
	s_add_u32 s0, s18, s0
	s_addc_u32 s1, s19, s1
	s_load_dword s6, s[0:1], 0x0
	s_mov_b64 s[0:1], 0
.LBB10_1:                               ; =>This Inner Loop Header: Depth=1
	v_add_u32_e32 v1, 0x400, v1
	v_cmp_lt_u32_e32 vcc, s7, v1
	ds_write_b32 v2, v3
	s_or_b64 s[0:1], vcc, s[0:1]
	v_add_u32_e32 v2, 0x1000, v2
	s_andn2_b64 exec, exec, s[0:1]
	s_cbranch_execnz .LBB10_1
; %bb.2:
	s_or_b64 exec, exec, s[0:1]
	s_load_dwordx4 s[16:19], s[4:5], 0x48
	v_and_b32_e32 v6, 31, v0
	v_lshrrev_b32_e32 v1, 5, v0
	v_mov_b32_e32 v7, 0
	s_waitcnt lgkmcnt(0)
	s_bitcmp1_b32 s19, 0
	s_cselect_b64 s[0:1], -1, 0
	s_and_b64 vcc, exec, s[0:1]
	s_barrier
	s_cbranch_vccz .LBB10_20
; %bb.3:
	s_ashr_i32 s7, s6, 31
	s_lshl_b64 s[0:1], s[6:7], 2
	s_add_u32 s0, s20, s0
	s_addc_u32 s1, s21, s1
	s_load_dwordx2 s[0:1], s[0:1], 0x0
	v_subrev_u32_e32 v2, s16, v1
	v_mov_b32_e32 v7, 0
	s_waitcnt lgkmcnt(0)
	s_sub_i32 s7, s1, s16
	v_add_u32_e32 v2, s0, v2
	v_cmp_gt_i32_e32 vcc, s7, v2
	s_and_saveexec_b64 s[20:21], vcc
	s_cbranch_execz .LBB10_19
; %bb.4:
	v_subrev_u32_e32 v8, s17, v6
	s_mov_b64 s[24:25], 0
	v_mov_b32_e32 v7, 0
	v_mov_b32_e32 v9, s23
	;; [unrolled: 1-line block ×3, first 2 shown]
	s_movk_i32 s9, 0x4f
	v_mov_b32_e32 v11, -1
	s_branch .LBB10_7
.LBB10_5:                               ;   in Loop: Header=BB10_7 Depth=1
	s_or_b64 exec, exec, s[28:29]
.LBB10_6:                               ;   in Loop: Header=BB10_7 Depth=1
	s_or_b64 exec, exec, s[26:27]
	v_add_u32_e32 v2, 32, v2
	v_cmp_le_i32_e32 vcc, s7, v2
	s_or_b64 s[24:25], vcc, s[24:25]
	s_andn2_b64 exec, exec, s[24:25]
	s_cbranch_execz .LBB10_18
.LBB10_7:                               ; =>This Loop Header: Depth=1
                                        ;     Child Loop BB10_10 Depth 2
                                        ;       Child Loop BB10_13 Depth 3
	v_ashrrev_i32_e32 v3, 31, v2
	v_lshlrev_b64 v[4:5], 2, v[2:3]
	v_add_co_u32_e32 v4, vcc, s22, v4
	v_addc_co_u32_e32 v5, vcc, v9, v5, vcc
	global_load_dword v3, v[4:5], off
	s_waitcnt vmcnt(0)
	v_subrev_u32_e32 v4, s16, v3
	v_ashrrev_i32_e32 v5, 31, v4
	v_lshlrev_b64 v[4:5], 2, v[4:5]
	v_add_co_u32_e32 v4, vcc, s8, v4
	v_addc_co_u32_e32 v5, vcc, v10, v5, vcc
	global_load_dwordx2 v[4:5], v[4:5], off
	s_waitcnt vmcnt(0)
	v_subrev_u32_e32 v3, s17, v5
	v_add_u32_e32 v4, v8, v4
	v_cmp_lt_i32_e32 vcc, v4, v3
	s_and_saveexec_b64 s[26:27], vcc
	s_cbranch_execz .LBB10_6
; %bb.8:                                ;   in Loop: Header=BB10_7 Depth=1
	s_mov_b64 s[28:29], 0
	s_branch .LBB10_10
.LBB10_9:                               ;   in Loop: Header=BB10_10 Depth=2
	s_or_b64 exec, exec, s[38:39]
	v_add_u32_e32 v4, 32, v4
	v_cndmask_b32_e64 v5, 0, 1, s[30:31]
	v_cmp_ge_i32_e32 vcc, v4, v3
	s_or_b64 s[28:29], vcc, s[28:29]
	v_add_u32_e32 v7, v7, v5
	s_andn2_b64 exec, exec, s[28:29]
	s_cbranch_execz .LBB10_5
.LBB10_10:                              ;   Parent Loop BB10_7 Depth=1
                                        ; =>  This Loop Header: Depth=2
                                        ;       Child Loop BB10_13 Depth 3
	v_ashrrev_i32_e32 v5, 31, v4
	v_lshlrev_b64 v[12:13], 2, v[4:5]
	v_mov_b32_e32 v5, s11
	v_add_co_u32_e32 v12, vcc, s10, v12
	v_addc_co_u32_e32 v13, vcc, v5, v13, vcc
	global_load_dword v5, v[12:13], off
	s_mov_b64 s[38:39], 0
                                        ; implicit-def: $sgpr30_sgpr31
                                        ; implicit-def: $sgpr34_sgpr35
                                        ; implicit-def: $sgpr36_sgpr37
                                        ; implicit-def: $sgpr40_sgpr41
	s_waitcnt vmcnt(0)
	v_subrev_u32_e32 v5, s17, v5
	v_mul_lo_u32 v12, v5, s9
	v_and_b32_e32 v12, 0x3fff, v12
	s_branch .LBB10_13
.LBB10_11:                              ;   in Loop: Header=BB10_13 Depth=3
	s_or_b64 exec, exec, s[46:47]
	s_andn2_b64 s[36:37], s[36:37], exec
	s_and_b64 s[40:41], s[44:45], exec
	s_andn2_b64 s[34:35], s[34:35], exec
	s_and_b64 s[0:1], s[0:1], exec
	s_or_b64 s[36:37], s[36:37], s[40:41]
	s_or_b64 s[34:35], s[34:35], s[0:1]
                                        ; implicit-def: $sgpr40_sgpr41
.LBB10_12:                              ;   in Loop: Header=BB10_13 Depth=3
	s_or_b64 exec, exec, s[42:43]
	s_xor_b64 s[0:1], s[34:35], -1
	s_and_b64 s[0:1], exec, s[0:1]
	s_or_b64 s[38:39], s[0:1], s[38:39]
	s_andn2_b64 s[0:1], s[40:41], exec
	s_and_b64 s[42:43], s[36:37], exec
	s_or_b64 s[40:41], s[0:1], s[42:43]
	s_andn2_b64 s[0:1], s[30:31], exec
	s_or_b64 s[30:31], s[0:1], s[42:43]
	s_andn2_b64 exec, exec, s[38:39]
	s_cbranch_execz .LBB10_9
.LBB10_13:                              ;   Parent Loop BB10_7 Depth=1
                                        ;     Parent Loop BB10_10 Depth=2
                                        ; =>    This Inner Loop Header: Depth=3
	v_lshl_add_u32 v13, v12, 2, 0
	ds_read_b32 v14, v13
	s_andn2_b64 s[36:37], s[36:37], exec
	s_andn2_b64 s[34:35], s[34:35], exec
	s_waitcnt lgkmcnt(0)
	v_cmp_ne_u32_e32 vcc, v14, v5
	s_and_saveexec_b64 s[42:43], vcc
	s_cbranch_execz .LBB10_12
; %bb.14:                               ;   in Loop: Header=BB10_13 Depth=3
	v_cmp_ne_u32_e32 vcc, -1, v14
                                        ; implicit-def: $sgpr44_sgpr45
                                        ; implicit-def: $sgpr0_sgpr1
	s_and_saveexec_b64 s[46:47], vcc
	s_xor_b64 s[46:47], exec, s[46:47]
; %bb.15:                               ;   in Loop: Header=BB10_13 Depth=3
	v_add_u32_e32 v12, 1, v12
	v_and_b32_e32 v12, 0x3fff, v12
	s_mov_b64 s[0:1], -1
	s_and_b64 s[44:45], s[40:41], exec
                                        ; implicit-def: $vgpr13
; %bb.16:                               ;   in Loop: Header=BB10_13 Depth=3
	s_andn2_saveexec_b64 s[46:47], s[46:47]
	s_cbranch_execz .LBB10_11
; %bb.17:                               ;   in Loop: Header=BB10_13 Depth=3
	ds_cmpst_rtn_b32 v13, v13, v11, v5
	s_andn2_b64 s[48:49], s[0:1], exec
	s_andn2_b64 s[44:45], s[44:45], exec
	s_waitcnt lgkmcnt(0)
	v_cmp_eq_u32_e64 s[0:1], -1, v13
	v_cmp_ne_u32_e32 vcc, -1, v13
	s_or_b64 s[40:41], s[0:1], s[40:41]
	s_and_b64 s[0:1], vcc, exec
	s_and_b64 s[40:41], s[40:41], exec
	s_or_b64 s[0:1], s[48:49], s[0:1]
	s_or_b64 s[44:45], s[44:45], s[40:41]
	s_branch .LBB10_11
.LBB10_18:
	s_or_b64 exec, exec, s[24:25]
.LBB10_19:
	s_or_b64 exec, exec, s[20:21]
.LBB10_20:
	s_load_dword s0, s[4:5], 0x54
	s_waitcnt lgkmcnt(0)
	s_bfe_u32 s0, s0, 0x10008
	s_cmp_eq_u32 s0, 0
	s_cbranch_scc1 .LBB10_34
; %bb.21:
	s_ashr_i32 s7, s6, 31
	s_lshl_b64 s[0:1], s[6:7], 2
	s_add_u32 s0, s12, s0
	s_addc_u32 s1, s13, s1
	s_load_dwordx2 s[0:1], s[0:1], 0x0
	v_subrev_u32_e32 v2, s18, v1
	s_waitcnt lgkmcnt(0)
	s_sub_i32 s7, s1, s18
	v_add_u32_e32 v2, s0, v2
	v_cmp_gt_i32_e32 vcc, s7, v2
	s_and_saveexec_b64 s[4:5], vcc
	s_cbranch_execz .LBB10_33
; %bb.22:
	s_mov_b64 s[8:9], 0
	v_mov_b32_e32 v4, s15
	s_movk_i32 s15, 0x4f
	v_mov_b32_e32 v5, -1
	s_branch .LBB10_24
.LBB10_23:                              ;   in Loop: Header=BB10_24 Depth=1
	s_or_b64 exec, exec, s[20:21]
	v_add_u32_e32 v2, 32, v2
	v_cndmask_b32_e64 v3, 0, 1, s[10:11]
	v_cmp_le_i32_e32 vcc, s7, v2
	s_or_b64 s[8:9], vcc, s[8:9]
	v_add_u32_e32 v7, v7, v3
	s_andn2_b64 exec, exec, s[8:9]
	s_cbranch_execz .LBB10_32
.LBB10_24:                              ; =>This Loop Header: Depth=1
                                        ;     Child Loop BB10_27 Depth 2
	v_ashrrev_i32_e32 v3, 31, v2
	v_lshlrev_b64 v[8:9], 2, v[2:3]
	v_add_co_u32_e32 v8, vcc, s14, v8
	v_addc_co_u32_e32 v9, vcc, v4, v9, vcc
	global_load_dword v3, v[8:9], off
	s_mov_b64 s[20:21], 0
                                        ; implicit-def: $sgpr10_sgpr11
                                        ; implicit-def: $sgpr12_sgpr13
                                        ; implicit-def: $sgpr16_sgpr17
                                        ; implicit-def: $sgpr22_sgpr23
	s_waitcnt vmcnt(0)
	v_subrev_u32_e32 v3, s18, v3
	v_mul_lo_u32 v8, v3, s15
	v_and_b32_e32 v8, 0x3fff, v8
	s_branch .LBB10_27
.LBB10_25:                              ;   in Loop: Header=BB10_27 Depth=2
	s_or_b64 exec, exec, s[28:29]
	s_andn2_b64 s[16:17], s[16:17], exec
	s_and_b64 s[22:23], s[26:27], exec
	s_andn2_b64 s[12:13], s[12:13], exec
	s_and_b64 s[0:1], s[0:1], exec
	s_or_b64 s[16:17], s[16:17], s[22:23]
	s_or_b64 s[12:13], s[12:13], s[0:1]
                                        ; implicit-def: $sgpr22_sgpr23
.LBB10_26:                              ;   in Loop: Header=BB10_27 Depth=2
	s_or_b64 exec, exec, s[24:25]
	s_xor_b64 s[0:1], s[12:13], -1
	s_and_b64 s[0:1], exec, s[0:1]
	s_or_b64 s[20:21], s[0:1], s[20:21]
	s_andn2_b64 s[0:1], s[22:23], exec
	s_and_b64 s[24:25], s[16:17], exec
	s_or_b64 s[22:23], s[0:1], s[24:25]
	s_andn2_b64 s[0:1], s[10:11], exec
	s_or_b64 s[10:11], s[0:1], s[24:25]
	s_andn2_b64 exec, exec, s[20:21]
	s_cbranch_execz .LBB10_23
.LBB10_27:                              ;   Parent Loop BB10_24 Depth=1
                                        ; =>  This Inner Loop Header: Depth=2
	v_lshl_add_u32 v9, v8, 2, 0
	ds_read_b32 v10, v9
	s_andn2_b64 s[16:17], s[16:17], exec
	s_andn2_b64 s[12:13], s[12:13], exec
	s_waitcnt lgkmcnt(0)
	v_cmp_ne_u32_e32 vcc, v10, v3
	s_and_saveexec_b64 s[24:25], vcc
	s_cbranch_execz .LBB10_26
; %bb.28:                               ;   in Loop: Header=BB10_27 Depth=2
	v_cmp_ne_u32_e32 vcc, -1, v10
                                        ; implicit-def: $sgpr26_sgpr27
                                        ; implicit-def: $sgpr0_sgpr1
	s_and_saveexec_b64 s[28:29], vcc
	s_xor_b64 s[28:29], exec, s[28:29]
; %bb.29:                               ;   in Loop: Header=BB10_27 Depth=2
	v_add_u32_e32 v8, 1, v8
	v_and_b32_e32 v8, 0x3fff, v8
	s_mov_b64 s[0:1], -1
	s_and_b64 s[26:27], s[22:23], exec
                                        ; implicit-def: $vgpr9
; %bb.30:                               ;   in Loop: Header=BB10_27 Depth=2
	s_andn2_saveexec_b64 s[28:29], s[28:29]
	s_cbranch_execz .LBB10_25
; %bb.31:                               ;   in Loop: Header=BB10_27 Depth=2
	ds_cmpst_rtn_b32 v9, v9, v5, v3
	s_andn2_b64 s[30:31], s[0:1], exec
	s_andn2_b64 s[26:27], s[26:27], exec
	s_waitcnt lgkmcnt(0)
	v_cmp_eq_u32_e64 s[0:1], -1, v9
	v_cmp_ne_u32_e32 vcc, -1, v9
	s_or_b64 s[22:23], s[0:1], s[22:23]
	s_and_b64 s[0:1], vcc, exec
	s_and_b64 s[22:23], s[22:23], exec
	s_or_b64 s[0:1], s[30:31], s[0:1]
	s_or_b64 s[26:27], s[26:27], s[22:23]
	s_branch .LBB10_25
.LBB10_32:
	s_or_b64 exec, exec, s[8:9]
.LBB10_33:
	s_or_b64 exec, exec, s[4:5]
.LBB10_34:
	v_mov_b32_dpp v2, v7 row_shr:1 row_mask:0xf bank_mask:0xf
	v_add_u32_e32 v2, v2, v7
	v_cmp_eq_u32_e32 vcc, 31, v6
	s_nop 0
	v_mov_b32_dpp v3, v2 row_shr:2 row_mask:0xf bank_mask:0xf
	v_add_u32_e32 v2, v2, v3
	s_barrier
	s_nop 0
	v_mov_b32_dpp v3, v2 row_shr:4 row_mask:0xf bank_mask:0xe
	v_add_u32_e32 v2, v2, v3
	s_nop 1
	v_mov_b32_dpp v3, v2 row_shr:8 row_mask:0xf bank_mask:0xc
	v_add_u32_e32 v2, v2, v3
	s_nop 1
	v_mov_b32_dpp v3, v2 row_bcast:15 row_mask:0xa bank_mask:0xf
	s_and_saveexec_b64 s[0:1], vcc
	s_cbranch_execz .LBB10_36
; %bb.35:
	v_lshl_add_u32 v1, v1, 2, 0
	v_add_u32_e32 v2, v2, v3
	ds_write_b32 v1, v2
.LBB10_36:
	s_or_b64 exec, exec, s[0:1]
	v_cmp_gt_u32_e32 vcc, 32, v0
	v_mov_b32_e32 v1, 0
	s_waitcnt lgkmcnt(0)
	s_barrier
	s_and_saveexec_b64 s[0:1], vcc
	s_cbranch_execz .LBB10_38
; %bb.37:
	v_lshl_add_u32 v1, v0, 2, 0
	ds_read_b32 v1, v1
.LBB10_38:
	s_or_b64 exec, exec, s[0:1]
	s_waitcnt lgkmcnt(0)
	v_mov_b32_dpp v2, v1 row_shr:1 row_mask:0xf bank_mask:0xf
	v_add_u32_e32 v1, v2, v1
	v_cmp_eq_u32_e32 vcc, 31, v0
	s_nop 0
	v_mov_b32_dpp v2, v1 row_shr:2 row_mask:0xf bank_mask:0xf
	v_add_u32_e32 v1, v1, v2
	s_nop 1
	v_mov_b32_dpp v2, v1 row_shr:4 row_mask:0xf bank_mask:0xe
	v_add_u32_e32 v1, v1, v2
	;; [unrolled: 3-line block ×3, first 2 shown]
	s_nop 1
	v_mov_b32_dpp v2, v1 row_bcast:15 row_mask:0xa bank_mask:0xf
	s_and_saveexec_b64 s[0:1], vcc
	s_cbranch_execz .LBB10_40
; %bb.39:
	s_ashr_i32 s7, s6, 31
	s_lshl_b64 s[0:1], s[6:7], 2
	s_add_u32 s0, s2, s0
	s_addc_u32 s1, s3, s1
	v_mov_b32_e32 v0, 0
	v_add_u32_e32 v1, v1, v2
	global_store_dword v0, v1, s[0:1]
.LBB10_40:
	s_endpgm
	.section	.rodata,"a",@progbits
	.p2align	6, 0x0
	.amdhsa_kernel _ZN9rocsparseL25csrgemm_nnz_block_per_rowILj1024ELj32ELj16384ELj79EiiEEvPKT4_S3_PKT3_S3_S6_S3_S6_S3_PS4_21rocsparse_index_base_S8_S8_bb
		.amdhsa_group_segment_fixed_size 0
		.amdhsa_private_segment_fixed_size 0
		.amdhsa_kernarg_size 88
		.amdhsa_user_sgpr_count 6
		.amdhsa_user_sgpr_private_segment_buffer 1
		.amdhsa_user_sgpr_dispatch_ptr 0
		.amdhsa_user_sgpr_queue_ptr 0
		.amdhsa_user_sgpr_kernarg_segment_ptr 1
		.amdhsa_user_sgpr_dispatch_id 0
		.amdhsa_user_sgpr_flat_scratch_init 0
		.amdhsa_user_sgpr_kernarg_preload_length 0
		.amdhsa_user_sgpr_kernarg_preload_offset 0
		.amdhsa_user_sgpr_private_segment_size 0
		.amdhsa_uses_dynamic_stack 0
		.amdhsa_system_sgpr_private_segment_wavefront_offset 0
		.amdhsa_system_sgpr_workgroup_id_x 1
		.amdhsa_system_sgpr_workgroup_id_y 0
		.amdhsa_system_sgpr_workgroup_id_z 0
		.amdhsa_system_sgpr_workgroup_info 0
		.amdhsa_system_vgpr_workitem_id 0
		.amdhsa_next_free_vgpr 15
		.amdhsa_next_free_sgpr 50
		.amdhsa_accum_offset 16
		.amdhsa_reserve_vcc 1
		.amdhsa_reserve_flat_scratch 0
		.amdhsa_float_round_mode_32 0
		.amdhsa_float_round_mode_16_64 0
		.amdhsa_float_denorm_mode_32 3
		.amdhsa_float_denorm_mode_16_64 3
		.amdhsa_dx10_clamp 1
		.amdhsa_ieee_mode 1
		.amdhsa_fp16_overflow 0
		.amdhsa_tg_split 0
		.amdhsa_exception_fp_ieee_invalid_op 0
		.amdhsa_exception_fp_denorm_src 0
		.amdhsa_exception_fp_ieee_div_zero 0
		.amdhsa_exception_fp_ieee_overflow 0
		.amdhsa_exception_fp_ieee_underflow 0
		.amdhsa_exception_fp_ieee_inexact 0
		.amdhsa_exception_int_div_zero 0
	.end_amdhsa_kernel
	.section	.text._ZN9rocsparseL25csrgemm_nnz_block_per_rowILj1024ELj32ELj16384ELj79EiiEEvPKT4_S3_PKT3_S3_S6_S3_S6_S3_PS4_21rocsparse_index_base_S8_S8_bb,"axG",@progbits,_ZN9rocsparseL25csrgemm_nnz_block_per_rowILj1024ELj32ELj16384ELj79EiiEEvPKT4_S3_PKT3_S3_S6_S3_S6_S3_PS4_21rocsparse_index_base_S8_S8_bb,comdat
.Lfunc_end10:
	.size	_ZN9rocsparseL25csrgemm_nnz_block_per_rowILj1024ELj32ELj16384ELj79EiiEEvPKT4_S3_PKT3_S3_S6_S3_S6_S3_PS4_21rocsparse_index_base_S8_S8_bb, .Lfunc_end10-_ZN9rocsparseL25csrgemm_nnz_block_per_rowILj1024ELj32ELj16384ELj79EiiEEvPKT4_S3_PKT3_S3_S6_S3_S6_S3_PS4_21rocsparse_index_base_S8_S8_bb
                                        ; -- End function
	.section	.AMDGPU.csdata,"",@progbits
; Kernel info:
; codeLenInByte = 1404
; NumSgprs: 54
; NumVgprs: 15
; NumAgprs: 0
; TotalNumVgprs: 15
; ScratchSize: 0
; MemoryBound: 0
; FloatMode: 240
; IeeeMode: 1
; LDSByteSize: 0 bytes/workgroup (compile time only)
; SGPRBlocks: 6
; VGPRBlocks: 1
; NumSGPRsForWavesPerEU: 54
; NumVGPRsForWavesPerEU: 15
; AccumOffset: 16
; Occupancy: 8
; WaveLimiterHint : 1
; COMPUTE_PGM_RSRC2:SCRATCH_EN: 0
; COMPUTE_PGM_RSRC2:USER_SGPR: 6
; COMPUTE_PGM_RSRC2:TRAP_HANDLER: 0
; COMPUTE_PGM_RSRC2:TGID_X_EN: 1
; COMPUTE_PGM_RSRC2:TGID_Y_EN: 0
; COMPUTE_PGM_RSRC2:TGID_Z_EN: 0
; COMPUTE_PGM_RSRC2:TIDIG_COMP_CNT: 0
; COMPUTE_PGM_RSRC3_GFX90A:ACCUM_OFFSET: 3
; COMPUTE_PGM_RSRC3_GFX90A:TG_SPLIT: 0
	.section	.text._ZN9rocsparseL25csrgemm_nnz_block_per_rowILj1024ELj32ELj32768ELj79EiiEEvPKT4_S3_PKT3_S3_S6_S3_S6_S3_PS4_21rocsparse_index_base_S8_S8_bb,"axG",@progbits,_ZN9rocsparseL25csrgemm_nnz_block_per_rowILj1024ELj32ELj32768ELj79EiiEEvPKT4_S3_PKT3_S3_S6_S3_S6_S3_PS4_21rocsparse_index_base_S8_S8_bb,comdat
	.globl	_ZN9rocsparseL25csrgemm_nnz_block_per_rowILj1024ELj32ELj32768ELj79EiiEEvPKT4_S3_PKT3_S3_S6_S3_S6_S3_PS4_21rocsparse_index_base_S8_S8_bb ; -- Begin function _ZN9rocsparseL25csrgemm_nnz_block_per_rowILj1024ELj32ELj32768ELj79EiiEEvPKT4_S3_PKT3_S3_S6_S3_S6_S3_PS4_21rocsparse_index_base_S8_S8_bb
	.p2align	8
	.type	_ZN9rocsparseL25csrgemm_nnz_block_per_rowILj1024ELj32ELj32768ELj79EiiEEvPKT4_S3_PKT3_S3_S6_S3_S6_S3_PS4_21rocsparse_index_base_S8_S8_bb,@function
_ZN9rocsparseL25csrgemm_nnz_block_per_rowILj1024ELj32ELj32768ELj79EiiEEvPKT4_S3_PKT3_S3_S6_S3_S6_S3_PS4_21rocsparse_index_base_S8_S8_bb: ; @_ZN9rocsparseL25csrgemm_nnz_block_per_rowILj1024ELj32ELj32768ELj79EiiEEvPKT4_S3_PKT3_S3_S6_S3_S6_S3_PS4_21rocsparse_index_base_S8_S8_bb
; %bb.0:
	s_load_dwordx8 s[16:23], s[4:5], 0x0
	s_mov_b32 s1, 0
	v_or_b32_e32 v1, 0xfffffc00, v0
	v_lshl_add_u32 v2, v0, 2, 0
	v_mov_b32_e32 v3, -1
	s_waitcnt lgkmcnt(0)
	s_load_dword s0, s[16:17], 0x0
	s_load_dwordx2 s[2:3], s[4:5], 0x40
	s_load_dwordx8 s[8:15], s[4:5], 0x20
	s_movk_i32 s7, 0x7bff
	s_waitcnt lgkmcnt(0)
	s_add_i32 s0, s0, s6
	s_lshl_b64 s[0:1], s[0:1], 2
	s_add_u32 s0, s18, s0
	s_addc_u32 s1, s19, s1
	s_load_dword s6, s[0:1], 0x0
	s_mov_b64 s[0:1], 0
.LBB11_1:                               ; =>This Inner Loop Header: Depth=1
	v_add_u32_e32 v1, 0x400, v1
	v_cmp_lt_u32_e32 vcc, s7, v1
	ds_write_b32 v2, v3
	s_or_b64 s[0:1], vcc, s[0:1]
	v_add_u32_e32 v2, 0x1000, v2
	s_andn2_b64 exec, exec, s[0:1]
	s_cbranch_execnz .LBB11_1
; %bb.2:
	s_or_b64 exec, exec, s[0:1]
	s_load_dwordx4 s[16:19], s[4:5], 0x48
	v_and_b32_e32 v6, 31, v0
	v_lshrrev_b32_e32 v1, 5, v0
	v_mov_b32_e32 v7, 0
	s_waitcnt lgkmcnt(0)
	s_bitcmp1_b32 s19, 0
	s_cselect_b64 s[0:1], -1, 0
	s_and_b64 vcc, exec, s[0:1]
	s_barrier
	s_cbranch_vccz .LBB11_20
; %bb.3:
	s_ashr_i32 s7, s6, 31
	s_lshl_b64 s[0:1], s[6:7], 2
	s_add_u32 s0, s20, s0
	s_addc_u32 s1, s21, s1
	s_load_dwordx2 s[0:1], s[0:1], 0x0
	v_subrev_u32_e32 v2, s16, v1
	v_mov_b32_e32 v7, 0
	s_waitcnt lgkmcnt(0)
	s_sub_i32 s7, s1, s16
	v_add_u32_e32 v2, s0, v2
	v_cmp_gt_i32_e32 vcc, s7, v2
	s_and_saveexec_b64 s[20:21], vcc
	s_cbranch_execz .LBB11_19
; %bb.4:
	v_subrev_u32_e32 v8, s17, v6
	s_mov_b64 s[24:25], 0
	v_mov_b32_e32 v7, 0
	v_mov_b32_e32 v9, s23
	;; [unrolled: 1-line block ×3, first 2 shown]
	s_movk_i32 s9, 0x4f
	v_mov_b32_e32 v11, -1
	s_branch .LBB11_7
.LBB11_5:                               ;   in Loop: Header=BB11_7 Depth=1
	s_or_b64 exec, exec, s[28:29]
.LBB11_6:                               ;   in Loop: Header=BB11_7 Depth=1
	s_or_b64 exec, exec, s[26:27]
	v_add_u32_e32 v2, 32, v2
	v_cmp_le_i32_e32 vcc, s7, v2
	s_or_b64 s[24:25], vcc, s[24:25]
	s_andn2_b64 exec, exec, s[24:25]
	s_cbranch_execz .LBB11_18
.LBB11_7:                               ; =>This Loop Header: Depth=1
                                        ;     Child Loop BB11_10 Depth 2
                                        ;       Child Loop BB11_13 Depth 3
	v_ashrrev_i32_e32 v3, 31, v2
	v_lshlrev_b64 v[4:5], 2, v[2:3]
	v_add_co_u32_e32 v4, vcc, s22, v4
	v_addc_co_u32_e32 v5, vcc, v9, v5, vcc
	global_load_dword v3, v[4:5], off
	s_waitcnt vmcnt(0)
	v_subrev_u32_e32 v4, s16, v3
	v_ashrrev_i32_e32 v5, 31, v4
	v_lshlrev_b64 v[4:5], 2, v[4:5]
	v_add_co_u32_e32 v4, vcc, s8, v4
	v_addc_co_u32_e32 v5, vcc, v10, v5, vcc
	global_load_dwordx2 v[4:5], v[4:5], off
	s_waitcnt vmcnt(0)
	v_subrev_u32_e32 v3, s17, v5
	v_add_u32_e32 v4, v8, v4
	v_cmp_lt_i32_e32 vcc, v4, v3
	s_and_saveexec_b64 s[26:27], vcc
	s_cbranch_execz .LBB11_6
; %bb.8:                                ;   in Loop: Header=BB11_7 Depth=1
	s_mov_b64 s[28:29], 0
	s_branch .LBB11_10
.LBB11_9:                               ;   in Loop: Header=BB11_10 Depth=2
	s_or_b64 exec, exec, s[38:39]
	v_add_u32_e32 v4, 32, v4
	v_cndmask_b32_e64 v5, 0, 1, s[30:31]
	v_cmp_ge_i32_e32 vcc, v4, v3
	s_or_b64 s[28:29], vcc, s[28:29]
	v_add_u32_e32 v7, v7, v5
	s_andn2_b64 exec, exec, s[28:29]
	s_cbranch_execz .LBB11_5
.LBB11_10:                              ;   Parent Loop BB11_7 Depth=1
                                        ; =>  This Loop Header: Depth=2
                                        ;       Child Loop BB11_13 Depth 3
	v_ashrrev_i32_e32 v5, 31, v4
	v_lshlrev_b64 v[12:13], 2, v[4:5]
	v_mov_b32_e32 v5, s11
	v_add_co_u32_e32 v12, vcc, s10, v12
	v_addc_co_u32_e32 v13, vcc, v5, v13, vcc
	global_load_dword v5, v[12:13], off
	s_mov_b64 s[38:39], 0
                                        ; implicit-def: $sgpr30_sgpr31
                                        ; implicit-def: $sgpr34_sgpr35
                                        ; implicit-def: $sgpr36_sgpr37
                                        ; implicit-def: $sgpr40_sgpr41
	s_waitcnt vmcnt(0)
	v_subrev_u32_e32 v5, s17, v5
	v_mul_lo_u32 v12, v5, s9
	v_and_b32_e32 v12, 0x7fff, v12
	s_branch .LBB11_13
.LBB11_11:                              ;   in Loop: Header=BB11_13 Depth=3
	s_or_b64 exec, exec, s[46:47]
	s_andn2_b64 s[36:37], s[36:37], exec
	s_and_b64 s[40:41], s[44:45], exec
	s_andn2_b64 s[34:35], s[34:35], exec
	s_and_b64 s[0:1], s[0:1], exec
	s_or_b64 s[36:37], s[36:37], s[40:41]
	s_or_b64 s[34:35], s[34:35], s[0:1]
                                        ; implicit-def: $sgpr40_sgpr41
.LBB11_12:                              ;   in Loop: Header=BB11_13 Depth=3
	s_or_b64 exec, exec, s[42:43]
	s_xor_b64 s[0:1], s[34:35], -1
	s_and_b64 s[0:1], exec, s[0:1]
	s_or_b64 s[38:39], s[0:1], s[38:39]
	s_andn2_b64 s[0:1], s[40:41], exec
	s_and_b64 s[42:43], s[36:37], exec
	s_or_b64 s[40:41], s[0:1], s[42:43]
	s_andn2_b64 s[0:1], s[30:31], exec
	s_or_b64 s[30:31], s[0:1], s[42:43]
	s_andn2_b64 exec, exec, s[38:39]
	s_cbranch_execz .LBB11_9
.LBB11_13:                              ;   Parent Loop BB11_7 Depth=1
                                        ;     Parent Loop BB11_10 Depth=2
                                        ; =>    This Inner Loop Header: Depth=3
	v_lshl_add_u32 v13, v12, 2, 0
	ds_read_b32 v14, v13
	s_andn2_b64 s[36:37], s[36:37], exec
	s_andn2_b64 s[34:35], s[34:35], exec
	s_waitcnt lgkmcnt(0)
	v_cmp_ne_u32_e32 vcc, v14, v5
	s_and_saveexec_b64 s[42:43], vcc
	s_cbranch_execz .LBB11_12
; %bb.14:                               ;   in Loop: Header=BB11_13 Depth=3
	v_cmp_ne_u32_e32 vcc, -1, v14
                                        ; implicit-def: $sgpr44_sgpr45
                                        ; implicit-def: $sgpr0_sgpr1
	s_and_saveexec_b64 s[46:47], vcc
	s_xor_b64 s[46:47], exec, s[46:47]
; %bb.15:                               ;   in Loop: Header=BB11_13 Depth=3
	v_add_u32_e32 v12, 1, v12
	v_and_b32_e32 v12, 0x7fff, v12
	s_mov_b64 s[0:1], -1
	s_and_b64 s[44:45], s[40:41], exec
                                        ; implicit-def: $vgpr13
; %bb.16:                               ;   in Loop: Header=BB11_13 Depth=3
	s_andn2_saveexec_b64 s[46:47], s[46:47]
	s_cbranch_execz .LBB11_11
; %bb.17:                               ;   in Loop: Header=BB11_13 Depth=3
	ds_cmpst_rtn_b32 v13, v13, v11, v5
	s_andn2_b64 s[48:49], s[0:1], exec
	s_andn2_b64 s[44:45], s[44:45], exec
	s_waitcnt lgkmcnt(0)
	v_cmp_eq_u32_e64 s[0:1], -1, v13
	v_cmp_ne_u32_e32 vcc, -1, v13
	s_or_b64 s[40:41], s[0:1], s[40:41]
	s_and_b64 s[0:1], vcc, exec
	s_and_b64 s[40:41], s[40:41], exec
	s_or_b64 s[0:1], s[48:49], s[0:1]
	s_or_b64 s[44:45], s[44:45], s[40:41]
	s_branch .LBB11_11
.LBB11_18:
	s_or_b64 exec, exec, s[24:25]
.LBB11_19:
	s_or_b64 exec, exec, s[20:21]
.LBB11_20:
	s_load_dword s0, s[4:5], 0x54
	s_waitcnt lgkmcnt(0)
	s_bfe_u32 s0, s0, 0x10008
	s_cmp_eq_u32 s0, 0
	s_cbranch_scc1 .LBB11_34
; %bb.21:
	s_ashr_i32 s7, s6, 31
	s_lshl_b64 s[0:1], s[6:7], 2
	s_add_u32 s0, s12, s0
	s_addc_u32 s1, s13, s1
	s_load_dwordx2 s[0:1], s[0:1], 0x0
	v_subrev_u32_e32 v2, s18, v1
	s_waitcnt lgkmcnt(0)
	s_sub_i32 s7, s1, s18
	v_add_u32_e32 v2, s0, v2
	v_cmp_gt_i32_e32 vcc, s7, v2
	s_and_saveexec_b64 s[4:5], vcc
	s_cbranch_execz .LBB11_33
; %bb.22:
	s_mov_b64 s[8:9], 0
	v_mov_b32_e32 v4, s15
	s_movk_i32 s15, 0x4f
	v_mov_b32_e32 v5, -1
	s_branch .LBB11_24
.LBB11_23:                              ;   in Loop: Header=BB11_24 Depth=1
	s_or_b64 exec, exec, s[20:21]
	v_add_u32_e32 v2, 32, v2
	v_cndmask_b32_e64 v3, 0, 1, s[10:11]
	v_cmp_le_i32_e32 vcc, s7, v2
	s_or_b64 s[8:9], vcc, s[8:9]
	v_add_u32_e32 v7, v7, v3
	s_andn2_b64 exec, exec, s[8:9]
	s_cbranch_execz .LBB11_32
.LBB11_24:                              ; =>This Loop Header: Depth=1
                                        ;     Child Loop BB11_27 Depth 2
	v_ashrrev_i32_e32 v3, 31, v2
	v_lshlrev_b64 v[8:9], 2, v[2:3]
	v_add_co_u32_e32 v8, vcc, s14, v8
	v_addc_co_u32_e32 v9, vcc, v4, v9, vcc
	global_load_dword v3, v[8:9], off
	s_mov_b64 s[20:21], 0
                                        ; implicit-def: $sgpr10_sgpr11
                                        ; implicit-def: $sgpr12_sgpr13
                                        ; implicit-def: $sgpr16_sgpr17
                                        ; implicit-def: $sgpr22_sgpr23
	s_waitcnt vmcnt(0)
	v_subrev_u32_e32 v3, s18, v3
	v_mul_lo_u32 v8, v3, s15
	v_and_b32_e32 v8, 0x7fff, v8
	s_branch .LBB11_27
.LBB11_25:                              ;   in Loop: Header=BB11_27 Depth=2
	s_or_b64 exec, exec, s[28:29]
	s_andn2_b64 s[16:17], s[16:17], exec
	s_and_b64 s[22:23], s[26:27], exec
	s_andn2_b64 s[12:13], s[12:13], exec
	s_and_b64 s[0:1], s[0:1], exec
	s_or_b64 s[16:17], s[16:17], s[22:23]
	s_or_b64 s[12:13], s[12:13], s[0:1]
                                        ; implicit-def: $sgpr22_sgpr23
.LBB11_26:                              ;   in Loop: Header=BB11_27 Depth=2
	s_or_b64 exec, exec, s[24:25]
	s_xor_b64 s[0:1], s[12:13], -1
	s_and_b64 s[0:1], exec, s[0:1]
	s_or_b64 s[20:21], s[0:1], s[20:21]
	s_andn2_b64 s[0:1], s[22:23], exec
	s_and_b64 s[24:25], s[16:17], exec
	s_or_b64 s[22:23], s[0:1], s[24:25]
	s_andn2_b64 s[0:1], s[10:11], exec
	s_or_b64 s[10:11], s[0:1], s[24:25]
	s_andn2_b64 exec, exec, s[20:21]
	s_cbranch_execz .LBB11_23
.LBB11_27:                              ;   Parent Loop BB11_24 Depth=1
                                        ; =>  This Inner Loop Header: Depth=2
	v_lshl_add_u32 v9, v8, 2, 0
	ds_read_b32 v10, v9
	s_andn2_b64 s[16:17], s[16:17], exec
	s_andn2_b64 s[12:13], s[12:13], exec
	s_waitcnt lgkmcnt(0)
	v_cmp_ne_u32_e32 vcc, v10, v3
	s_and_saveexec_b64 s[24:25], vcc
	s_cbranch_execz .LBB11_26
; %bb.28:                               ;   in Loop: Header=BB11_27 Depth=2
	v_cmp_ne_u32_e32 vcc, -1, v10
                                        ; implicit-def: $sgpr26_sgpr27
                                        ; implicit-def: $sgpr0_sgpr1
	s_and_saveexec_b64 s[28:29], vcc
	s_xor_b64 s[28:29], exec, s[28:29]
; %bb.29:                               ;   in Loop: Header=BB11_27 Depth=2
	v_add_u32_e32 v8, 1, v8
	v_and_b32_e32 v8, 0x7fff, v8
	s_mov_b64 s[0:1], -1
	s_and_b64 s[26:27], s[22:23], exec
                                        ; implicit-def: $vgpr9
; %bb.30:                               ;   in Loop: Header=BB11_27 Depth=2
	s_andn2_saveexec_b64 s[28:29], s[28:29]
	s_cbranch_execz .LBB11_25
; %bb.31:                               ;   in Loop: Header=BB11_27 Depth=2
	ds_cmpst_rtn_b32 v9, v9, v5, v3
	s_andn2_b64 s[30:31], s[0:1], exec
	s_andn2_b64 s[26:27], s[26:27], exec
	s_waitcnt lgkmcnt(0)
	v_cmp_eq_u32_e64 s[0:1], -1, v9
	v_cmp_ne_u32_e32 vcc, -1, v9
	s_or_b64 s[22:23], s[0:1], s[22:23]
	s_and_b64 s[0:1], vcc, exec
	s_and_b64 s[22:23], s[22:23], exec
	s_or_b64 s[0:1], s[30:31], s[0:1]
	s_or_b64 s[26:27], s[26:27], s[22:23]
	s_branch .LBB11_25
.LBB11_32:
	s_or_b64 exec, exec, s[8:9]
.LBB11_33:
	s_or_b64 exec, exec, s[4:5]
.LBB11_34:
	v_mov_b32_dpp v2, v7 row_shr:1 row_mask:0xf bank_mask:0xf
	v_add_u32_e32 v2, v2, v7
	v_cmp_eq_u32_e32 vcc, 31, v6
	s_nop 0
	v_mov_b32_dpp v3, v2 row_shr:2 row_mask:0xf bank_mask:0xf
	v_add_u32_e32 v2, v2, v3
	s_barrier
	s_nop 0
	v_mov_b32_dpp v3, v2 row_shr:4 row_mask:0xf bank_mask:0xe
	v_add_u32_e32 v2, v2, v3
	s_nop 1
	v_mov_b32_dpp v3, v2 row_shr:8 row_mask:0xf bank_mask:0xc
	v_add_u32_e32 v2, v2, v3
	s_nop 1
	v_mov_b32_dpp v3, v2 row_bcast:15 row_mask:0xa bank_mask:0xf
	s_and_saveexec_b64 s[0:1], vcc
	s_cbranch_execz .LBB11_36
; %bb.35:
	v_lshl_add_u32 v1, v1, 2, 0
	v_add_u32_e32 v2, v2, v3
	ds_write_b32 v1, v2
.LBB11_36:
	s_or_b64 exec, exec, s[0:1]
	v_cmp_gt_u32_e32 vcc, 32, v0
	v_mov_b32_e32 v1, 0
	s_waitcnt lgkmcnt(0)
	s_barrier
	s_and_saveexec_b64 s[0:1], vcc
	s_cbranch_execz .LBB11_38
; %bb.37:
	v_lshl_add_u32 v1, v0, 2, 0
	ds_read_b32 v1, v1
.LBB11_38:
	s_or_b64 exec, exec, s[0:1]
	s_waitcnt lgkmcnt(0)
	v_mov_b32_dpp v2, v1 row_shr:1 row_mask:0xf bank_mask:0xf
	v_add_u32_e32 v1, v2, v1
	v_cmp_eq_u32_e32 vcc, 31, v0
	s_nop 0
	v_mov_b32_dpp v2, v1 row_shr:2 row_mask:0xf bank_mask:0xf
	v_add_u32_e32 v1, v1, v2
	s_nop 1
	v_mov_b32_dpp v2, v1 row_shr:4 row_mask:0xf bank_mask:0xe
	v_add_u32_e32 v1, v1, v2
	;; [unrolled: 3-line block ×3, first 2 shown]
	s_nop 1
	v_mov_b32_dpp v2, v1 row_bcast:15 row_mask:0xa bank_mask:0xf
	s_and_saveexec_b64 s[0:1], vcc
	s_cbranch_execz .LBB11_40
; %bb.39:
	s_ashr_i32 s7, s6, 31
	s_lshl_b64 s[0:1], s[6:7], 2
	s_add_u32 s0, s2, s0
	s_addc_u32 s1, s3, s1
	v_mov_b32_e32 v0, 0
	v_add_u32_e32 v1, v1, v2
	global_store_dword v0, v1, s[0:1]
.LBB11_40:
	s_endpgm
	.section	.rodata,"a",@progbits
	.p2align	6, 0x0
	.amdhsa_kernel _ZN9rocsparseL25csrgemm_nnz_block_per_rowILj1024ELj32ELj32768ELj79EiiEEvPKT4_S3_PKT3_S3_S6_S3_S6_S3_PS4_21rocsparse_index_base_S8_S8_bb
		.amdhsa_group_segment_fixed_size 0
		.amdhsa_private_segment_fixed_size 0
		.amdhsa_kernarg_size 88
		.amdhsa_user_sgpr_count 6
		.amdhsa_user_sgpr_private_segment_buffer 1
		.amdhsa_user_sgpr_dispatch_ptr 0
		.amdhsa_user_sgpr_queue_ptr 0
		.amdhsa_user_sgpr_kernarg_segment_ptr 1
		.amdhsa_user_sgpr_dispatch_id 0
		.amdhsa_user_sgpr_flat_scratch_init 0
		.amdhsa_user_sgpr_kernarg_preload_length 0
		.amdhsa_user_sgpr_kernarg_preload_offset 0
		.amdhsa_user_sgpr_private_segment_size 0
		.amdhsa_uses_dynamic_stack 0
		.amdhsa_system_sgpr_private_segment_wavefront_offset 0
		.amdhsa_system_sgpr_workgroup_id_x 1
		.amdhsa_system_sgpr_workgroup_id_y 0
		.amdhsa_system_sgpr_workgroup_id_z 0
		.amdhsa_system_sgpr_workgroup_info 0
		.amdhsa_system_vgpr_workitem_id 0
		.amdhsa_next_free_vgpr 15
		.amdhsa_next_free_sgpr 50
		.amdhsa_accum_offset 16
		.amdhsa_reserve_vcc 1
		.amdhsa_reserve_flat_scratch 0
		.amdhsa_float_round_mode_32 0
		.amdhsa_float_round_mode_16_64 0
		.amdhsa_float_denorm_mode_32 3
		.amdhsa_float_denorm_mode_16_64 3
		.amdhsa_dx10_clamp 1
		.amdhsa_ieee_mode 1
		.amdhsa_fp16_overflow 0
		.amdhsa_tg_split 0
		.amdhsa_exception_fp_ieee_invalid_op 0
		.amdhsa_exception_fp_denorm_src 0
		.amdhsa_exception_fp_ieee_div_zero 0
		.amdhsa_exception_fp_ieee_overflow 0
		.amdhsa_exception_fp_ieee_underflow 0
		.amdhsa_exception_fp_ieee_inexact 0
		.amdhsa_exception_int_div_zero 0
	.end_amdhsa_kernel
	.section	.text._ZN9rocsparseL25csrgemm_nnz_block_per_rowILj1024ELj32ELj32768ELj79EiiEEvPKT4_S3_PKT3_S3_S6_S3_S6_S3_PS4_21rocsparse_index_base_S8_S8_bb,"axG",@progbits,_ZN9rocsparseL25csrgemm_nnz_block_per_rowILj1024ELj32ELj32768ELj79EiiEEvPKT4_S3_PKT3_S3_S6_S3_S6_S3_PS4_21rocsparse_index_base_S8_S8_bb,comdat
.Lfunc_end11:
	.size	_ZN9rocsparseL25csrgemm_nnz_block_per_rowILj1024ELj32ELj32768ELj79EiiEEvPKT4_S3_PKT3_S3_S6_S3_S6_S3_PS4_21rocsparse_index_base_S8_S8_bb, .Lfunc_end11-_ZN9rocsparseL25csrgemm_nnz_block_per_rowILj1024ELj32ELj32768ELj79EiiEEvPKT4_S3_PKT3_S3_S6_S3_S6_S3_PS4_21rocsparse_index_base_S8_S8_bb
                                        ; -- End function
	.section	.AMDGPU.csdata,"",@progbits
; Kernel info:
; codeLenInByte = 1404
; NumSgprs: 54
; NumVgprs: 15
; NumAgprs: 0
; TotalNumVgprs: 15
; ScratchSize: 0
; MemoryBound: 0
; FloatMode: 240
; IeeeMode: 1
; LDSByteSize: 0 bytes/workgroup (compile time only)
; SGPRBlocks: 6
; VGPRBlocks: 1
; NumSGPRsForWavesPerEU: 54
; NumVGPRsForWavesPerEU: 15
; AccumOffset: 16
; Occupancy: 8
; WaveLimiterHint : 1
; COMPUTE_PGM_RSRC2:SCRATCH_EN: 0
; COMPUTE_PGM_RSRC2:USER_SGPR: 6
; COMPUTE_PGM_RSRC2:TRAP_HANDLER: 0
; COMPUTE_PGM_RSRC2:TGID_X_EN: 1
; COMPUTE_PGM_RSRC2:TGID_Y_EN: 0
; COMPUTE_PGM_RSRC2:TGID_Z_EN: 0
; COMPUTE_PGM_RSRC2:TIDIG_COMP_CNT: 0
; COMPUTE_PGM_RSRC3_GFX90A:ACCUM_OFFSET: 3
; COMPUTE_PGM_RSRC3_GFX90A:TG_SPLIT: 0
	.section	.text._ZN9rocsparseL25csrgemm_nnz_block_per_rowILj1024ELj32ELj65536ELj79EiiEEvPKT4_S3_PKT3_S3_S6_S3_S6_S3_PS4_21rocsparse_index_base_S8_S8_bb,"axG",@progbits,_ZN9rocsparseL25csrgemm_nnz_block_per_rowILj1024ELj32ELj65536ELj79EiiEEvPKT4_S3_PKT3_S3_S6_S3_S6_S3_PS4_21rocsparse_index_base_S8_S8_bb,comdat
	.globl	_ZN9rocsparseL25csrgemm_nnz_block_per_rowILj1024ELj32ELj65536ELj79EiiEEvPKT4_S3_PKT3_S3_S6_S3_S6_S3_PS4_21rocsparse_index_base_S8_S8_bb ; -- Begin function _ZN9rocsparseL25csrgemm_nnz_block_per_rowILj1024ELj32ELj65536ELj79EiiEEvPKT4_S3_PKT3_S3_S6_S3_S6_S3_PS4_21rocsparse_index_base_S8_S8_bb
	.p2align	8
	.type	_ZN9rocsparseL25csrgemm_nnz_block_per_rowILj1024ELj32ELj65536ELj79EiiEEvPKT4_S3_PKT3_S3_S6_S3_S6_S3_PS4_21rocsparse_index_base_S8_S8_bb,@function
_ZN9rocsparseL25csrgemm_nnz_block_per_rowILj1024ELj32ELj65536ELj79EiiEEvPKT4_S3_PKT3_S3_S6_S3_S6_S3_PS4_21rocsparse_index_base_S8_S8_bb: ; @_ZN9rocsparseL25csrgemm_nnz_block_per_rowILj1024ELj32ELj65536ELj79EiiEEvPKT4_S3_PKT3_S3_S6_S3_S6_S3_PS4_21rocsparse_index_base_S8_S8_bb
; %bb.0:
	s_load_dwordx8 s[16:23], s[4:5], 0x0
	s_mov_b32 s1, 0
	v_or_b32_e32 v1, 0xfffffc00, v0
	v_lshl_add_u32 v2, v0, 2, 0
	v_mov_b32_e32 v3, -1
	s_waitcnt lgkmcnt(0)
	s_load_dword s0, s[16:17], 0x0
	s_load_dwordx2 s[2:3], s[4:5], 0x40
	s_load_dwordx8 s[8:15], s[4:5], 0x20
	s_mov_b32 s7, 0xfbff
	s_waitcnt lgkmcnt(0)
	s_add_i32 s0, s0, s6
	s_lshl_b64 s[0:1], s[0:1], 2
	s_add_u32 s0, s18, s0
	s_addc_u32 s1, s19, s1
	s_load_dword s6, s[0:1], 0x0
	s_mov_b64 s[0:1], 0
.LBB12_1:                               ; =>This Inner Loop Header: Depth=1
	v_add_u32_e32 v1, 0x400, v1
	v_cmp_lt_u32_e32 vcc, s7, v1
	ds_write_b32 v2, v3
	s_or_b64 s[0:1], vcc, s[0:1]
	v_add_u32_e32 v2, 0x1000, v2
	s_andn2_b64 exec, exec, s[0:1]
	s_cbranch_execnz .LBB12_1
; %bb.2:
	s_or_b64 exec, exec, s[0:1]
	s_load_dwordx4 s[16:19], s[4:5], 0x48
	v_and_b32_e32 v6, 31, v0
	v_lshrrev_b32_e32 v1, 5, v0
	v_mov_b32_e32 v7, 0
	s_waitcnt lgkmcnt(0)
	s_bitcmp1_b32 s19, 0
	s_cselect_b64 s[0:1], -1, 0
	s_and_b64 vcc, exec, s[0:1]
	s_barrier
	s_cbranch_vccz .LBB12_20
; %bb.3:
	s_ashr_i32 s7, s6, 31
	s_lshl_b64 s[0:1], s[6:7], 2
	s_add_u32 s0, s20, s0
	s_addc_u32 s1, s21, s1
	s_load_dwordx2 s[0:1], s[0:1], 0x0
	v_subrev_u32_e32 v2, s16, v1
	v_mov_b32_e32 v7, 0
	s_waitcnt lgkmcnt(0)
	s_sub_i32 s7, s1, s16
	v_add_u32_e32 v2, s0, v2
	v_cmp_gt_i32_e32 vcc, s7, v2
	s_and_saveexec_b64 s[20:21], vcc
	s_cbranch_execz .LBB12_19
; %bb.4:
	v_subrev_u32_e32 v8, s17, v6
	s_mov_b64 s[24:25], 0
	v_mov_b32_e32 v7, 0
	v_mov_b32_e32 v9, s23
	;; [unrolled: 1-line block ×3, first 2 shown]
	s_movk_i32 s9, 0x4f
	v_mov_b32_e32 v11, -1
	s_branch .LBB12_7
.LBB12_5:                               ;   in Loop: Header=BB12_7 Depth=1
	s_or_b64 exec, exec, s[28:29]
.LBB12_6:                               ;   in Loop: Header=BB12_7 Depth=1
	s_or_b64 exec, exec, s[26:27]
	v_add_u32_e32 v2, 32, v2
	v_cmp_le_i32_e32 vcc, s7, v2
	s_or_b64 s[24:25], vcc, s[24:25]
	s_andn2_b64 exec, exec, s[24:25]
	s_cbranch_execz .LBB12_18
.LBB12_7:                               ; =>This Loop Header: Depth=1
                                        ;     Child Loop BB12_10 Depth 2
                                        ;       Child Loop BB12_13 Depth 3
	v_ashrrev_i32_e32 v3, 31, v2
	v_lshlrev_b64 v[4:5], 2, v[2:3]
	v_add_co_u32_e32 v4, vcc, s22, v4
	v_addc_co_u32_e32 v5, vcc, v9, v5, vcc
	global_load_dword v3, v[4:5], off
	s_waitcnt vmcnt(0)
	v_subrev_u32_e32 v4, s16, v3
	v_ashrrev_i32_e32 v5, 31, v4
	v_lshlrev_b64 v[4:5], 2, v[4:5]
	v_add_co_u32_e32 v4, vcc, s8, v4
	v_addc_co_u32_e32 v5, vcc, v10, v5, vcc
	global_load_dwordx2 v[4:5], v[4:5], off
	s_waitcnt vmcnt(0)
	v_subrev_u32_e32 v3, s17, v5
	v_add_u32_e32 v4, v8, v4
	v_cmp_lt_i32_e32 vcc, v4, v3
	s_and_saveexec_b64 s[26:27], vcc
	s_cbranch_execz .LBB12_6
; %bb.8:                                ;   in Loop: Header=BB12_7 Depth=1
	s_mov_b64 s[28:29], 0
	s_branch .LBB12_10
.LBB12_9:                               ;   in Loop: Header=BB12_10 Depth=2
	s_or_b64 exec, exec, s[38:39]
	v_add_u32_e32 v4, 32, v4
	v_cndmask_b32_e64 v5, 0, 1, s[30:31]
	v_cmp_ge_i32_e32 vcc, v4, v3
	s_or_b64 s[28:29], vcc, s[28:29]
	v_add_u32_e32 v7, v7, v5
	s_andn2_b64 exec, exec, s[28:29]
	s_cbranch_execz .LBB12_5
.LBB12_10:                              ;   Parent Loop BB12_7 Depth=1
                                        ; =>  This Loop Header: Depth=2
                                        ;       Child Loop BB12_13 Depth 3
	v_ashrrev_i32_e32 v5, 31, v4
	v_lshlrev_b64 v[12:13], 2, v[4:5]
	v_mov_b32_e32 v5, s11
	v_add_co_u32_e32 v12, vcc, s10, v12
	v_addc_co_u32_e32 v13, vcc, v5, v13, vcc
	global_load_dword v5, v[12:13], off
	s_mov_b64 s[38:39], 0
                                        ; implicit-def: $sgpr30_sgpr31
                                        ; implicit-def: $sgpr34_sgpr35
                                        ; implicit-def: $sgpr36_sgpr37
                                        ; implicit-def: $sgpr40_sgpr41
	s_waitcnt vmcnt(0)
	v_subrev_u32_e32 v5, s17, v5
	v_mul_lo_u32 v12, v5, s9
	v_and_b32_e32 v12, 0xffff, v12
	s_branch .LBB12_13
.LBB12_11:                              ;   in Loop: Header=BB12_13 Depth=3
	s_or_b64 exec, exec, s[46:47]
	s_andn2_b64 s[36:37], s[36:37], exec
	s_and_b64 s[40:41], s[44:45], exec
	s_andn2_b64 s[34:35], s[34:35], exec
	s_and_b64 s[0:1], s[0:1], exec
	s_or_b64 s[36:37], s[36:37], s[40:41]
	s_or_b64 s[34:35], s[34:35], s[0:1]
                                        ; implicit-def: $sgpr40_sgpr41
.LBB12_12:                              ;   in Loop: Header=BB12_13 Depth=3
	s_or_b64 exec, exec, s[42:43]
	s_xor_b64 s[0:1], s[34:35], -1
	s_and_b64 s[0:1], exec, s[0:1]
	s_or_b64 s[38:39], s[0:1], s[38:39]
	s_andn2_b64 s[0:1], s[40:41], exec
	s_and_b64 s[42:43], s[36:37], exec
	s_or_b64 s[40:41], s[0:1], s[42:43]
	s_andn2_b64 s[0:1], s[30:31], exec
	s_or_b64 s[30:31], s[0:1], s[42:43]
	s_andn2_b64 exec, exec, s[38:39]
	s_cbranch_execz .LBB12_9
.LBB12_13:                              ;   Parent Loop BB12_7 Depth=1
                                        ;     Parent Loop BB12_10 Depth=2
                                        ; =>    This Inner Loop Header: Depth=3
	v_lshl_add_u32 v13, v12, 2, 0
	ds_read_b32 v14, v13
	s_andn2_b64 s[36:37], s[36:37], exec
	s_andn2_b64 s[34:35], s[34:35], exec
	s_waitcnt lgkmcnt(0)
	v_cmp_ne_u32_e32 vcc, v14, v5
	s_and_saveexec_b64 s[42:43], vcc
	s_cbranch_execz .LBB12_12
; %bb.14:                               ;   in Loop: Header=BB12_13 Depth=3
	v_cmp_ne_u32_e32 vcc, -1, v14
                                        ; implicit-def: $sgpr44_sgpr45
                                        ; implicit-def: $sgpr0_sgpr1
	s_and_saveexec_b64 s[46:47], vcc
	s_xor_b64 s[46:47], exec, s[46:47]
; %bb.15:                               ;   in Loop: Header=BB12_13 Depth=3
	v_add_u32_e32 v12, 1, v12
	v_and_b32_e32 v12, 0xffff, v12
	s_mov_b64 s[0:1], -1
	s_and_b64 s[44:45], s[40:41], exec
                                        ; implicit-def: $vgpr13
; %bb.16:                               ;   in Loop: Header=BB12_13 Depth=3
	s_andn2_saveexec_b64 s[46:47], s[46:47]
	s_cbranch_execz .LBB12_11
; %bb.17:                               ;   in Loop: Header=BB12_13 Depth=3
	ds_cmpst_rtn_b32 v13, v13, v11, v5
	s_andn2_b64 s[48:49], s[0:1], exec
	s_andn2_b64 s[44:45], s[44:45], exec
	s_waitcnt lgkmcnt(0)
	v_cmp_eq_u32_e64 s[0:1], -1, v13
	v_cmp_ne_u32_e32 vcc, -1, v13
	s_or_b64 s[40:41], s[0:1], s[40:41]
	s_and_b64 s[0:1], vcc, exec
	s_and_b64 s[40:41], s[40:41], exec
	s_or_b64 s[0:1], s[48:49], s[0:1]
	s_or_b64 s[44:45], s[44:45], s[40:41]
	s_branch .LBB12_11
.LBB12_18:
	s_or_b64 exec, exec, s[24:25]
.LBB12_19:
	s_or_b64 exec, exec, s[20:21]
.LBB12_20:
	s_load_dword s0, s[4:5], 0x54
	s_waitcnt lgkmcnt(0)
	s_bfe_u32 s0, s0, 0x10008
	s_cmp_eq_u32 s0, 0
	s_cbranch_scc1 .LBB12_34
; %bb.21:
	s_ashr_i32 s7, s6, 31
	s_lshl_b64 s[0:1], s[6:7], 2
	s_add_u32 s0, s12, s0
	s_addc_u32 s1, s13, s1
	s_load_dwordx2 s[0:1], s[0:1], 0x0
	v_subrev_u32_e32 v2, s18, v1
	s_waitcnt lgkmcnt(0)
	s_sub_i32 s7, s1, s18
	v_add_u32_e32 v2, s0, v2
	v_cmp_gt_i32_e32 vcc, s7, v2
	s_and_saveexec_b64 s[4:5], vcc
	s_cbranch_execz .LBB12_33
; %bb.22:
	s_mov_b64 s[8:9], 0
	v_mov_b32_e32 v4, s15
	s_movk_i32 s15, 0x4f
	v_mov_b32_e32 v5, -1
	s_branch .LBB12_24
.LBB12_23:                              ;   in Loop: Header=BB12_24 Depth=1
	s_or_b64 exec, exec, s[20:21]
	v_add_u32_e32 v2, 32, v2
	v_cndmask_b32_e64 v3, 0, 1, s[10:11]
	v_cmp_le_i32_e32 vcc, s7, v2
	s_or_b64 s[8:9], vcc, s[8:9]
	v_add_u32_e32 v7, v7, v3
	s_andn2_b64 exec, exec, s[8:9]
	s_cbranch_execz .LBB12_32
.LBB12_24:                              ; =>This Loop Header: Depth=1
                                        ;     Child Loop BB12_27 Depth 2
	v_ashrrev_i32_e32 v3, 31, v2
	v_lshlrev_b64 v[8:9], 2, v[2:3]
	v_add_co_u32_e32 v8, vcc, s14, v8
	v_addc_co_u32_e32 v9, vcc, v4, v9, vcc
	global_load_dword v3, v[8:9], off
	s_mov_b64 s[20:21], 0
                                        ; implicit-def: $sgpr10_sgpr11
                                        ; implicit-def: $sgpr12_sgpr13
                                        ; implicit-def: $sgpr16_sgpr17
                                        ; implicit-def: $sgpr22_sgpr23
	s_waitcnt vmcnt(0)
	v_subrev_u32_e32 v3, s18, v3
	v_mul_lo_u32 v8, v3, s15
	v_and_b32_e32 v8, 0xffff, v8
	s_branch .LBB12_27
.LBB12_25:                              ;   in Loop: Header=BB12_27 Depth=2
	s_or_b64 exec, exec, s[28:29]
	s_andn2_b64 s[16:17], s[16:17], exec
	s_and_b64 s[22:23], s[26:27], exec
	s_andn2_b64 s[12:13], s[12:13], exec
	s_and_b64 s[0:1], s[0:1], exec
	s_or_b64 s[16:17], s[16:17], s[22:23]
	s_or_b64 s[12:13], s[12:13], s[0:1]
                                        ; implicit-def: $sgpr22_sgpr23
.LBB12_26:                              ;   in Loop: Header=BB12_27 Depth=2
	s_or_b64 exec, exec, s[24:25]
	s_xor_b64 s[0:1], s[12:13], -1
	s_and_b64 s[0:1], exec, s[0:1]
	s_or_b64 s[20:21], s[0:1], s[20:21]
	s_andn2_b64 s[0:1], s[22:23], exec
	s_and_b64 s[24:25], s[16:17], exec
	s_or_b64 s[22:23], s[0:1], s[24:25]
	s_andn2_b64 s[0:1], s[10:11], exec
	s_or_b64 s[10:11], s[0:1], s[24:25]
	s_andn2_b64 exec, exec, s[20:21]
	s_cbranch_execz .LBB12_23
.LBB12_27:                              ;   Parent Loop BB12_24 Depth=1
                                        ; =>  This Inner Loop Header: Depth=2
	v_lshl_add_u32 v9, v8, 2, 0
	ds_read_b32 v10, v9
	s_andn2_b64 s[16:17], s[16:17], exec
	s_andn2_b64 s[12:13], s[12:13], exec
	s_waitcnt lgkmcnt(0)
	v_cmp_ne_u32_e32 vcc, v10, v3
	s_and_saveexec_b64 s[24:25], vcc
	s_cbranch_execz .LBB12_26
; %bb.28:                               ;   in Loop: Header=BB12_27 Depth=2
	v_cmp_ne_u32_e32 vcc, -1, v10
                                        ; implicit-def: $sgpr26_sgpr27
                                        ; implicit-def: $sgpr0_sgpr1
	s_and_saveexec_b64 s[28:29], vcc
	s_xor_b64 s[28:29], exec, s[28:29]
; %bb.29:                               ;   in Loop: Header=BB12_27 Depth=2
	v_add_u32_e32 v8, 1, v8
	v_and_b32_e32 v8, 0xffff, v8
	s_mov_b64 s[0:1], -1
	s_and_b64 s[26:27], s[22:23], exec
                                        ; implicit-def: $vgpr9
; %bb.30:                               ;   in Loop: Header=BB12_27 Depth=2
	s_andn2_saveexec_b64 s[28:29], s[28:29]
	s_cbranch_execz .LBB12_25
; %bb.31:                               ;   in Loop: Header=BB12_27 Depth=2
	ds_cmpst_rtn_b32 v9, v9, v5, v3
	s_andn2_b64 s[30:31], s[0:1], exec
	s_andn2_b64 s[26:27], s[26:27], exec
	s_waitcnt lgkmcnt(0)
	v_cmp_eq_u32_e64 s[0:1], -1, v9
	v_cmp_ne_u32_e32 vcc, -1, v9
	s_or_b64 s[22:23], s[0:1], s[22:23]
	s_and_b64 s[0:1], vcc, exec
	s_and_b64 s[22:23], s[22:23], exec
	s_or_b64 s[0:1], s[30:31], s[0:1]
	s_or_b64 s[26:27], s[26:27], s[22:23]
	s_branch .LBB12_25
.LBB12_32:
	s_or_b64 exec, exec, s[8:9]
.LBB12_33:
	s_or_b64 exec, exec, s[4:5]
.LBB12_34:
	v_mov_b32_dpp v2, v7 row_shr:1 row_mask:0xf bank_mask:0xf
	v_add_u32_e32 v2, v2, v7
	v_cmp_eq_u32_e32 vcc, 31, v6
	s_nop 0
	v_mov_b32_dpp v3, v2 row_shr:2 row_mask:0xf bank_mask:0xf
	v_add_u32_e32 v2, v2, v3
	s_barrier
	s_nop 0
	v_mov_b32_dpp v3, v2 row_shr:4 row_mask:0xf bank_mask:0xe
	v_add_u32_e32 v2, v2, v3
	s_nop 1
	v_mov_b32_dpp v3, v2 row_shr:8 row_mask:0xf bank_mask:0xc
	v_add_u32_e32 v2, v2, v3
	s_nop 1
	v_mov_b32_dpp v3, v2 row_bcast:15 row_mask:0xa bank_mask:0xf
	s_and_saveexec_b64 s[0:1], vcc
	s_cbranch_execz .LBB12_36
; %bb.35:
	v_lshl_add_u32 v1, v1, 2, 0
	v_add_u32_e32 v2, v2, v3
	ds_write_b32 v1, v2
.LBB12_36:
	s_or_b64 exec, exec, s[0:1]
	v_cmp_gt_u32_e32 vcc, 32, v0
	v_mov_b32_e32 v1, 0
	s_waitcnt lgkmcnt(0)
	s_barrier
	s_and_saveexec_b64 s[0:1], vcc
	s_cbranch_execz .LBB12_38
; %bb.37:
	v_lshl_add_u32 v1, v0, 2, 0
	ds_read_b32 v1, v1
.LBB12_38:
	s_or_b64 exec, exec, s[0:1]
	s_waitcnt lgkmcnt(0)
	v_mov_b32_dpp v2, v1 row_shr:1 row_mask:0xf bank_mask:0xf
	v_add_u32_e32 v1, v2, v1
	v_cmp_eq_u32_e32 vcc, 31, v0
	s_nop 0
	v_mov_b32_dpp v2, v1 row_shr:2 row_mask:0xf bank_mask:0xf
	v_add_u32_e32 v1, v1, v2
	s_nop 1
	v_mov_b32_dpp v2, v1 row_shr:4 row_mask:0xf bank_mask:0xe
	v_add_u32_e32 v1, v1, v2
	;; [unrolled: 3-line block ×3, first 2 shown]
	s_nop 1
	v_mov_b32_dpp v2, v1 row_bcast:15 row_mask:0xa bank_mask:0xf
	s_and_saveexec_b64 s[0:1], vcc
	s_cbranch_execz .LBB12_40
; %bb.39:
	s_ashr_i32 s7, s6, 31
	s_lshl_b64 s[0:1], s[6:7], 2
	s_add_u32 s0, s2, s0
	s_addc_u32 s1, s3, s1
	v_mov_b32_e32 v0, 0
	v_add_u32_e32 v1, v1, v2
	global_store_dword v0, v1, s[0:1]
.LBB12_40:
	s_endpgm
	.section	.rodata,"a",@progbits
	.p2align	6, 0x0
	.amdhsa_kernel _ZN9rocsparseL25csrgemm_nnz_block_per_rowILj1024ELj32ELj65536ELj79EiiEEvPKT4_S3_PKT3_S3_S6_S3_S6_S3_PS4_21rocsparse_index_base_S8_S8_bb
		.amdhsa_group_segment_fixed_size 0
		.amdhsa_private_segment_fixed_size 0
		.amdhsa_kernarg_size 88
		.amdhsa_user_sgpr_count 6
		.amdhsa_user_sgpr_private_segment_buffer 1
		.amdhsa_user_sgpr_dispatch_ptr 0
		.amdhsa_user_sgpr_queue_ptr 0
		.amdhsa_user_sgpr_kernarg_segment_ptr 1
		.amdhsa_user_sgpr_dispatch_id 0
		.amdhsa_user_sgpr_flat_scratch_init 0
		.amdhsa_user_sgpr_kernarg_preload_length 0
		.amdhsa_user_sgpr_kernarg_preload_offset 0
		.amdhsa_user_sgpr_private_segment_size 0
		.amdhsa_uses_dynamic_stack 0
		.amdhsa_system_sgpr_private_segment_wavefront_offset 0
		.amdhsa_system_sgpr_workgroup_id_x 1
		.amdhsa_system_sgpr_workgroup_id_y 0
		.amdhsa_system_sgpr_workgroup_id_z 0
		.amdhsa_system_sgpr_workgroup_info 0
		.amdhsa_system_vgpr_workitem_id 0
		.amdhsa_next_free_vgpr 15
		.amdhsa_next_free_sgpr 50
		.amdhsa_accum_offset 16
		.amdhsa_reserve_vcc 1
		.amdhsa_reserve_flat_scratch 0
		.amdhsa_float_round_mode_32 0
		.amdhsa_float_round_mode_16_64 0
		.amdhsa_float_denorm_mode_32 3
		.amdhsa_float_denorm_mode_16_64 3
		.amdhsa_dx10_clamp 1
		.amdhsa_ieee_mode 1
		.amdhsa_fp16_overflow 0
		.amdhsa_tg_split 0
		.amdhsa_exception_fp_ieee_invalid_op 0
		.amdhsa_exception_fp_denorm_src 0
		.amdhsa_exception_fp_ieee_div_zero 0
		.amdhsa_exception_fp_ieee_overflow 0
		.amdhsa_exception_fp_ieee_underflow 0
		.amdhsa_exception_fp_ieee_inexact 0
		.amdhsa_exception_int_div_zero 0
	.end_amdhsa_kernel
	.section	.text._ZN9rocsparseL25csrgemm_nnz_block_per_rowILj1024ELj32ELj65536ELj79EiiEEvPKT4_S3_PKT3_S3_S6_S3_S6_S3_PS4_21rocsparse_index_base_S8_S8_bb,"axG",@progbits,_ZN9rocsparseL25csrgemm_nnz_block_per_rowILj1024ELj32ELj65536ELj79EiiEEvPKT4_S3_PKT3_S3_S6_S3_S6_S3_PS4_21rocsparse_index_base_S8_S8_bb,comdat
.Lfunc_end12:
	.size	_ZN9rocsparseL25csrgemm_nnz_block_per_rowILj1024ELj32ELj65536ELj79EiiEEvPKT4_S3_PKT3_S3_S6_S3_S6_S3_PS4_21rocsparse_index_base_S8_S8_bb, .Lfunc_end12-_ZN9rocsparseL25csrgemm_nnz_block_per_rowILj1024ELj32ELj65536ELj79EiiEEvPKT4_S3_PKT3_S3_S6_S3_S6_S3_PS4_21rocsparse_index_base_S8_S8_bb
                                        ; -- End function
	.section	.AMDGPU.csdata,"",@progbits
; Kernel info:
; codeLenInByte = 1408
; NumSgprs: 54
; NumVgprs: 15
; NumAgprs: 0
; TotalNumVgprs: 15
; ScratchSize: 0
; MemoryBound: 0
; FloatMode: 240
; IeeeMode: 1
; LDSByteSize: 0 bytes/workgroup (compile time only)
; SGPRBlocks: 6
; VGPRBlocks: 1
; NumSGPRsForWavesPerEU: 54
; NumVGPRsForWavesPerEU: 15
; AccumOffset: 16
; Occupancy: 8
; WaveLimiterHint : 1
; COMPUTE_PGM_RSRC2:SCRATCH_EN: 0
; COMPUTE_PGM_RSRC2:USER_SGPR: 6
; COMPUTE_PGM_RSRC2:TRAP_HANDLER: 0
; COMPUTE_PGM_RSRC2:TGID_X_EN: 1
; COMPUTE_PGM_RSRC2:TGID_Y_EN: 0
; COMPUTE_PGM_RSRC2:TGID_Z_EN: 0
; COMPUTE_PGM_RSRC2:TIDIG_COMP_CNT: 0
; COMPUTE_PGM_RSRC3_GFX90A:ACCUM_OFFSET: 3
; COMPUTE_PGM_RSRC3_GFX90A:TG_SPLIT: 0
	.section	.text._ZN9rocsparseL35csrgemm_nnz_block_per_row_multipassILj512ELj16ELj2048EiiEEvT3_PKS1_S3_PKT2_S3_S6_S3_S6_S3_PS4_S7_21rocsparse_index_base_S8_S8_bb,"axG",@progbits,_ZN9rocsparseL35csrgemm_nnz_block_per_row_multipassILj512ELj16ELj2048EiiEEvT3_PKS1_S3_PKT2_S3_S6_S3_S6_S3_PS4_S7_21rocsparse_index_base_S8_S8_bb,comdat
	.globl	_ZN9rocsparseL35csrgemm_nnz_block_per_row_multipassILj512ELj16ELj2048EiiEEvT3_PKS1_S3_PKT2_S3_S6_S3_S6_S3_PS4_S7_21rocsparse_index_base_S8_S8_bb ; -- Begin function _ZN9rocsparseL35csrgemm_nnz_block_per_row_multipassILj512ELj16ELj2048EiiEEvT3_PKS1_S3_PKT2_S3_S6_S3_S6_S3_PS4_S7_21rocsparse_index_base_S8_S8_bb
	.p2align	8
	.type	_ZN9rocsparseL35csrgemm_nnz_block_per_row_multipassILj512ELj16ELj2048EiiEEvT3_PKS1_S3_PKT2_S3_S6_S3_S6_S3_PS4_S7_21rocsparse_index_base_S8_S8_bb,@function
_ZN9rocsparseL35csrgemm_nnz_block_per_row_multipassILj512ELj16ELj2048EiiEEvT3_PKS1_S3_PKT2_S3_S6_S3_S6_S3_PS4_S7_21rocsparse_index_base_S8_S8_bb: ; @_ZN9rocsparseL35csrgemm_nnz_block_per_row_multipassILj512ELj16ELj2048EiiEEvT3_PKS1_S3_PKT2_S3_S6_S3_S6_S3_PS4_S7_21rocsparse_index_base_S8_S8_bb
; %bb.0:
	s_load_dwordx4 s[12:15], s[4:5], 0x8
	s_load_dwordx2 s[8:9], s[4:5], 0x18
	s_mov_b32 s3, 0
	s_waitcnt lgkmcnt(0)
	s_load_dword s0, s[12:13], 0x0
	s_waitcnt lgkmcnt(0)
	s_add_i32 s2, s0, s6
	s_lshl_b64 s[0:1], s[2:3], 2
	s_add_u32 s6, s14, s0
	s_addc_u32 s7, s15, s1
	v_cmp_eq_u32_e64 s[0:1], 0, v0
	s_and_saveexec_b64 s[10:11], s[0:1]
	s_cbranch_execz .LBB13_2
; %bb.1:
	v_mov_b32_e32 v1, 0
	ds_write_b32 v1, v1 offset:2052
.LBB13_2:
	s_or_b64 exec, exec, s[10:11]
	s_load_dwordx4 s[20:23], s[4:5], 0x58
	s_load_dword s10, s[6:7], 0x0
	s_waitcnt lgkmcnt(0)
	s_bitcmp1_b32 s23, 0
	s_cselect_b64 s[6:7], -1, 0
	s_bitcmp0_b32 s23, 0
	s_cbranch_scc0 .LBB13_5
; %bb.3:
	s_andn2_b64 vcc, exec, s[6:7]
	s_mov_b32 s23, 0
	s_cbranch_vccz .LBB13_6
.LBB13_4:
	s_load_dword s33, s[4:5], 0x0
	s_waitcnt lgkmcnt(0)
	s_cmp_lt_i32 s33, 1
	s_cbranch_scc0 .LBB13_7
	s_branch .LBB13_67
.LBB13_5:
	s_ashr_i32 s11, s10, 31
	s_lshl_b64 s[2:3], s[10:11], 2
	s_add_u32 s2, s8, s2
	s_addc_u32 s3, s9, s3
	s_load_dword s2, s[2:3], 0x0
	s_waitcnt lgkmcnt(0)
	s_sub_i32 s3, s2, s20
	s_andn2_b64 vcc, exec, s[6:7]
	s_mov_b32 s23, 0
	s_cbranch_vccnz .LBB13_4
.LBB13_6:
	s_ashr_i32 s11, s10, 31
	s_lshl_b64 s[12:13], s[10:11], 2
	s_add_u32 s8, s8, s12
	s_addc_u32 s9, s9, s13
	s_load_dword s2, s[8:9], 0x4
	s_waitcnt lgkmcnt(0)
	s_sub_i32 s23, s2, s20
	s_load_dword s33, s[4:5], 0x0
	s_waitcnt lgkmcnt(0)
	s_cmp_lt_i32 s33, 1
	s_cbranch_scc1 .LBB13_67
.LBB13_7:
	s_load_dword s2, s[4:5], 0x64
	s_load_dwordx8 s[12:19], s[4:5], 0x20
	s_load_dwordx2 s[24:25], s[4:5], 0x50
	s_load_dwordx2 s[26:27], s[4:5], 0x40
	v_lshrrev_b32_e32 v2, 4, v0
	s_waitcnt lgkmcnt(0)
	s_bitcmp1_b32 s2, 8
	s_cselect_b64 s[28:29], -1, 0
	s_ashr_i32 s11, s10, 31
	v_add_u32_e32 v8, s3, v2
	s_lshl_b64 s[8:9], s[10:11], 2
	v_cmp_gt_i32_e32 vcc, s23, v8
	s_add_u32 s18, s18, s8
	s_addc_u32 s19, s19, s9
	s_and_b64 s[30:31], s[6:7], vcc
	v_and_b32_e32 v1, 15, v0
	s_add_u32 s11, s14, 4
	v_cmp_eq_u32_e64 s[2:3], 15, v1
	v_subrev_u32_e32 v9, s22, v0
	s_addc_u32 s52, s15, 0
	v_or_b32_e32 v10, 0xfffffe00, v0
	v_mov_b32_e32 v11, 0
	v_mov_b32_e32 v13, 0x800
	s_mov_b64 s[34:35], -1
	s_movk_i32 s53, 0x5ff
	v_mov_b32_e32 v12, 1
	v_mov_b32_e32 v14, 0
	s_branch .LBB13_9
.LBB13_8:                               ;   in Loop: Header=BB13_9 Depth=1
	s_or_b64 exec, exec, s[6:7]
	s_waitcnt lgkmcnt(0)
	s_barrier
	ds_read_b32 v14, v11 offset:2048
	s_waitcnt lgkmcnt(0)
	s_barrier
	v_cmp_gt_i32_e32 vcc, s33, v14
	v_add_u32_e32 v13, 0x800, v14
	s_cbranch_vccz .LBB13_67
.LBB13_9:                               ; =>This Loop Header: Depth=1
                                        ;     Child Loop BB13_18 Depth 2
                                        ;       Child Loop BB13_24 Depth 3
                                        ;     Child Loop BB13_45 Depth 2
                                        ;     Child Loop BB13_57 Depth 2
	;; [unrolled: 1-line block ×4, first 2 shown]
	s_and_saveexec_b64 s[6:7], s[34:35]
	s_cbranch_execnz .LBB13_36
; %bb.10:                               ;   in Loop: Header=BB13_9 Depth=1
	s_or_b64 exec, exec, s[6:7]
	s_and_saveexec_b64 s[6:7], s[34:35]
	s_cbranch_execnz .LBB13_37
.LBB13_11:                              ;   in Loop: Header=BB13_9 Depth=1
	s_or_b64 exec, exec, s[6:7]
	s_and_saveexec_b64 s[6:7], s[34:35]
	s_cbranch_execnz .LBB13_38
.LBB13_12:                              ;   in Loop: Header=BB13_9 Depth=1
	s_or_b64 exec, exec, s[6:7]
	s_and_saveexec_b64 s[6:7], s[34:35]
	s_cbranch_execnz .LBB13_39
.LBB13_13:                              ;   in Loop: Header=BB13_9 Depth=1
	s_or_b64 exec, exec, s[6:7]
	s_and_saveexec_b64 s[6:7], s[0:1]
	s_cbranch_execz .LBB13_15
.LBB13_14:                              ;   in Loop: Header=BB13_9 Depth=1
	v_mov_b32_e32 v2, s33
	ds_write_b32 v11, v2 offset:2048
.LBB13_15:                              ;   in Loop: Header=BB13_9 Depth=1
	s_or_b64 exec, exec, s[6:7]
	v_mov_b32_e32 v15, s33
	s_waitcnt lgkmcnt(0)
	s_barrier
	s_and_saveexec_b64 s[36:37], s[30:31]
	s_cbranch_execz .LBB13_41
; %bb.16:                               ;   in Loop: Header=BB13_9 Depth=1
	s_mov_b64 s[38:39], 0
	v_cmp_ne_u32_e64 s[6:7], 0, v14
	v_mov_b32_e32 v15, s33
	v_mov_b32_e32 v2, v8
	s_branch .LBB13_18
.LBB13_17:                              ;   in Loop: Header=BB13_18 Depth=2
	s_or_b64 exec, exec, s[8:9]
	v_add_u32_e32 v2, 32, v2
	v_cmp_le_i32_e32 vcc, s23, v2
	s_or_b64 s[38:39], vcc, s[38:39]
	s_andn2_b64 exec, exec, s[38:39]
	s_cbranch_execz .LBB13_40
.LBB13_18:                              ;   Parent Loop BB13_9 Depth=1
                                        ; =>  This Loop Header: Depth=2
                                        ;       Child Loop BB13_24 Depth 3
	v_ashrrev_i32_e32 v3, 31, v2
	v_lshlrev_b64 v[4:5], 2, v[2:3]
	v_mov_b32_e32 v3, s13
	v_add_co_u32_e32 v6, vcc, s12, v4
	v_addc_co_u32_e32 v7, vcc, v3, v5, vcc
	global_load_dword v3, v[6:7], off
	s_and_b64 vcc, exec, s[6:7]
	s_waitcnt vmcnt(0)
	v_subrev_u32_e32 v6, s20, v3
	v_ashrrev_i32_e32 v7, 31, v6
	s_cbranch_vccz .LBB13_35
; %bb.19:                               ;   in Loop: Header=BB13_18 Depth=2
	v_mov_b32_e32 v3, s25
	v_add_co_u32_e32 v16, vcc, s24, v4
	v_addc_co_u32_e32 v17, vcc, v3, v5, vcc
	global_load_dword v3, v[16:17], off
	s_cbranch_execnz .LBB13_21
.LBB13_20:                              ;   in Loop: Header=BB13_18 Depth=2
	v_lshlrev_b64 v[16:17], 2, v[6:7]
	s_waitcnt vmcnt(0)
	v_mov_b32_e32 v3, s15
	v_add_co_u32_e32 v16, vcc, s14, v16
	v_addc_co_u32_e32 v17, vcc, v3, v17, vcc
	global_load_dword v3, v[16:17], off
	s_waitcnt vmcnt(0)
	v_subrev_u32_e32 v3, s21, v3
.LBB13_21:                              ;   in Loop: Header=BB13_18 Depth=2
	v_lshlrev_b64 v[6:7], 2, v[6:7]
	v_mov_b32_e32 v16, s52
	v_add_co_u32_e32 v6, vcc, s11, v6
	v_addc_co_u32_e32 v7, vcc, v16, v7, vcc
	global_load_dword v6, v[6:7], off
	s_waitcnt vmcnt(1)
	v_add_u32_e32 v3, v3, v1
	s_waitcnt vmcnt(0)
	v_subrev_u32_e32 v16, s21, v6
	v_cmp_lt_i32_e32 vcc, v3, v16
	s_and_saveexec_b64 s[40:41], vcc
	s_cbranch_execz .LBB13_33
; %bb.22:                               ;   in Loop: Header=BB13_18 Depth=2
	s_mov_b64 s[44:45], 0
	v_mov_b32_e32 v6, v3
                                        ; implicit-def: $sgpr42_sgpr43
                                        ; implicit-def: $sgpr46_sgpr47
	s_branch .LBB13_24
.LBB13_23:                              ;   in Loop: Header=BB13_24 Depth=3
	s_or_b64 exec, exec, s[48:49]
	s_and_b64 s[8:9], exec, s[50:51]
	s_or_b64 s[44:45], s[8:9], s[44:45]
	s_andn2_b64 s[8:9], s[42:43], exec
	s_and_b64 s[42:43], s[46:47], exec
	s_or_b64 s[42:43], s[8:9], s[42:43]
	v_mov_b32_e32 v6, v18
	s_andn2_b64 exec, exec, s[44:45]
	s_cbranch_execz .LBB13_30
.LBB13_24:                              ;   Parent Loop BB13_9 Depth=1
                                        ;     Parent Loop BB13_18 Depth=2
                                        ; =>    This Inner Loop Header: Depth=3
	v_ashrrev_i32_e32 v7, 31, v6
	v_lshlrev_b64 v[18:19], 2, v[6:7]
	v_mov_b32_e32 v7, s17
	v_add_co_u32_e32 v18, vcc, s16, v18
	v_addc_co_u32_e32 v19, vcc, v7, v19, vcc
	global_load_dword v7, v[18:19], off
                                        ; implicit-def: $sgpr48_sgpr49
	s_waitcnt vmcnt(0)
	v_subrev_u32_e32 v7, s21, v7
	v_cmp_lt_i32_e32 vcc, v7, v14
	v_cmp_ge_i32_e64 s[8:9], v7, v13
	s_or_b64 s[50:51], vcc, s[8:9]
	s_mov_b64 s[8:9], 0
	s_and_saveexec_b64 s[54:55], s[50:51]
	s_xor_b64 s[50:51], exec, s[54:55]
; %bb.25:                               ;   in Loop: Header=BB13_24 Depth=3
	v_cmp_lt_i32_e32 vcc, v7, v13
	s_mov_b64 s[48:49], -1
	s_and_b64 s[8:9], vcc, exec
; %bb.26:                               ;   in Loop: Header=BB13_24 Depth=3
	s_andn2_saveexec_b64 s[50:51], s[50:51]
	s_cbranch_execz .LBB13_28
; %bb.27:                               ;   in Loop: Header=BB13_24 Depth=3
	v_sub_u32_e32 v17, v7, v14
	s_or_b64 s[8:9], s[8:9], exec
	ds_write_b8 v17, v12
.LBB13_28:                              ;   in Loop: Header=BB13_24 Depth=3
	s_or_b64 exec, exec, s[50:51]
	s_andn2_b64 s[46:47], s[46:47], exec
	s_and_b64 s[48:49], s[48:49], exec
	s_mov_b64 s[50:51], -1
	s_or_b64 s[46:47], s[46:47], s[48:49]
	v_mov_b32_e32 v17, v6
                                        ; implicit-def: $vgpr18
	s_and_saveexec_b64 s[48:49], s[8:9]
	s_cbranch_execz .LBB13_23
; %bb.29:                               ;   in Loop: Header=BB13_24 Depth=3
	v_add_u32_e32 v18, 16, v6
	v_cmp_ge_i32_e32 vcc, v18, v16
	s_andn2_b64 s[46:47], s[46:47], exec
	s_orn2_b64 s[50:51], vcc, exec
	v_mov_b32_e32 v17, v6
	s_branch .LBB13_23
.LBB13_30:                              ;   in Loop: Header=BB13_18 Depth=2
	s_or_b64 exec, exec, s[44:45]
	s_and_saveexec_b64 s[8:9], s[42:43]
	s_xor_b64 s[8:9], exec, s[8:9]
; %bb.31:                               ;   in Loop: Header=BB13_18 Depth=2
	v_min_i32_e32 v15, v7, v15
	v_mov_b32_e32 v3, v17
; %bb.32:                               ;   in Loop: Header=BB13_18 Depth=2
	s_or_b64 exec, exec, s[8:9]
.LBB13_33:                              ;   in Loop: Header=BB13_18 Depth=2
	s_or_b64 exec, exec, s[40:41]
	v_mov_b32_dpp v6, v3 row_shr:1 row_mask:0xf bank_mask:0xf
	v_min_i32_e32 v3, v6, v3
	s_nop 1
	v_mov_b32_dpp v6, v3 row_shr:2 row_mask:0xf bank_mask:0xf
	v_min_i32_e32 v3, v6, v3
	s_nop 1
	;; [unrolled: 3-line block ×3, first 2 shown]
	v_mov_b32_dpp v6, v3 row_shr:8 row_mask:0xf bank_mask:0xc
	s_and_saveexec_b64 s[8:9], s[2:3]
	s_cbranch_execz .LBB13_17
; %bb.34:                               ;   in Loop: Header=BB13_18 Depth=2
	v_mov_b32_e32 v7, s25
	v_add_co_u32_e32 v4, vcc, s24, v4
	v_addc_co_u32_e32 v5, vcc, v7, v5, vcc
	v_min_i32_e32 v3, v6, v3
	global_store_dword v[4:5], v3, off
	s_branch .LBB13_17
.LBB13_35:                              ;   in Loop: Header=BB13_18 Depth=2
                                        ; implicit-def: $vgpr3
	s_branch .LBB13_20
.LBB13_36:                              ;   in Loop: Header=BB13_9 Depth=1
	ds_write_b8 v0, v11
	s_or_b64 exec, exec, s[6:7]
	s_and_saveexec_b64 s[6:7], s[34:35]
	s_cbranch_execz .LBB13_11
.LBB13_37:                              ;   in Loop: Header=BB13_9 Depth=1
	ds_write_b8 v0, v11 offset:512
	s_or_b64 exec, exec, s[6:7]
	s_and_saveexec_b64 s[6:7], s[34:35]
	s_cbranch_execz .LBB13_12
.LBB13_38:                              ;   in Loop: Header=BB13_9 Depth=1
	ds_write_b8 v0, v11 offset:1024
	s_or_b64 exec, exec, s[6:7]
	s_and_saveexec_b64 s[6:7], s[34:35]
	s_cbranch_execz .LBB13_13
.LBB13_39:                              ;   in Loop: Header=BB13_9 Depth=1
	ds_write_b8 v0, v11 offset:1536
	s_or_b64 exec, exec, s[6:7]
	s_and_saveexec_b64 s[6:7], s[0:1]
	s_cbranch_execnz .LBB13_14
	s_branch .LBB13_15
.LBB13_40:                              ;   in Loop: Header=BB13_9 Depth=1
	s_or_b64 exec, exec, s[38:39]
.LBB13_41:                              ;   in Loop: Header=BB13_9 Depth=1
	s_or_b64 exec, exec, s[36:37]
	s_andn2_b64 vcc, exec, s[28:29]
	s_cbranch_vccnz .LBB13_55
; %bb.42:                               ;   in Loop: Header=BB13_9 Depth=1
	s_load_dwordx2 s[6:7], s[18:19], 0x0
	s_waitcnt lgkmcnt(0)
	s_sub_i32 s46, s7, s22
	v_add_u32_e32 v2, s6, v9
	v_cmp_gt_i32_e32 vcc, s46, v2
	s_and_saveexec_b64 s[8:9], vcc
	s_cbranch_execz .LBB13_54
; %bb.43:                               ;   in Loop: Header=BB13_9 Depth=1
	s_mov_b64 s[36:37], 0
                                        ; implicit-def: $sgpr38_sgpr39
                                        ; implicit-def: $sgpr40_sgpr41
	s_branch .LBB13_45
.LBB13_44:                              ;   in Loop: Header=BB13_45 Depth=2
	s_or_b64 exec, exec, s[42:43]
	s_and_b64 s[6:7], exec, s[44:45]
	s_or_b64 s[36:37], s[6:7], s[36:37]
	s_andn2_b64 s[6:7], s[38:39], exec
	s_and_b64 s[38:39], s[40:41], exec
	s_or_b64 s[38:39], s[6:7], s[38:39]
	s_andn2_b64 exec, exec, s[36:37]
	s_cbranch_execz .LBB13_51
.LBB13_45:                              ;   Parent Loop BB13_9 Depth=1
                                        ; =>  This Inner Loop Header: Depth=2
	v_ashrrev_i32_e32 v3, 31, v2
	v_lshlrev_b64 v[4:5], 2, v[2:3]
	v_mov_b32_e32 v3, s27
	v_add_co_u32_e32 v4, vcc, s26, v4
	v_addc_co_u32_e32 v5, vcc, v3, v5, vcc
	global_load_dword v3, v[4:5], off
                                        ; implicit-def: $sgpr42_sgpr43
	s_waitcnt vmcnt(0)
	v_subrev_u32_e32 v3, s22, v3
	v_cmp_lt_i32_e32 vcc, v3, v14
	v_cmp_ge_i32_e64 s[6:7], v3, v13
	s_or_b64 s[44:45], vcc, s[6:7]
	s_mov_b64 s[6:7], 0
	s_and_saveexec_b64 s[48:49], s[44:45]
	s_xor_b64 s[44:45], exec, s[48:49]
; %bb.46:                               ;   in Loop: Header=BB13_45 Depth=2
	v_cmp_lt_i32_e32 vcc, v3, v13
	s_mov_b64 s[42:43], -1
	s_and_b64 s[6:7], vcc, exec
; %bb.47:                               ;   in Loop: Header=BB13_45 Depth=2
	s_andn2_saveexec_b64 s[44:45], s[44:45]
	s_cbranch_execz .LBB13_49
; %bb.48:                               ;   in Loop: Header=BB13_45 Depth=2
	v_sub_u32_e32 v4, v3, v14
	s_or_b64 s[6:7], s[6:7], exec
	ds_write_b8 v4, v12
.LBB13_49:                              ;   in Loop: Header=BB13_45 Depth=2
	s_or_b64 exec, exec, s[44:45]
	s_andn2_b64 s[40:41], s[40:41], exec
	s_and_b64 s[42:43], s[42:43], exec
	s_mov_b64 s[44:45], -1
	s_or_b64 s[40:41], s[40:41], s[42:43]
	s_and_saveexec_b64 s[42:43], s[6:7]
	s_cbranch_execz .LBB13_44
; %bb.50:                               ;   in Loop: Header=BB13_45 Depth=2
	v_add_u32_e32 v2, 0x200, v2
	v_cmp_le_i32_e32 vcc, s46, v2
	s_andn2_b64 s[40:41], s[40:41], exec
	s_orn2_b64 s[44:45], vcc, exec
	s_branch .LBB13_44
.LBB13_51:                              ;   in Loop: Header=BB13_9 Depth=1
	s_or_b64 exec, exec, s[36:37]
	s_and_saveexec_b64 s[6:7], s[38:39]
	s_xor_b64 s[6:7], exec, s[6:7]
; %bb.52:                               ;   in Loop: Header=BB13_9 Depth=1
	v_min_i32_e32 v15, v3, v15
; %bb.53:                               ;   in Loop: Header=BB13_9 Depth=1
	s_or_b64 exec, exec, s[6:7]
.LBB13_54:                              ;   in Loop: Header=BB13_9 Depth=1
	s_or_b64 exec, exec, s[8:9]
.LBB13_55:                              ;   in Loop: Header=BB13_9 Depth=1
	v_mov_b32_dpp v2, v15 row_shr:1 row_mask:0xf bank_mask:0xf
	v_min_i32_e32 v2, v2, v15
	s_nop 1
	v_mov_b32_dpp v3, v2 row_shr:2 row_mask:0xf bank_mask:0xf
	v_min_i32_e32 v2, v3, v2
	s_nop 1
	;; [unrolled: 3-line block ×3, first 2 shown]
	v_mov_b32_dpp v3, v2 row_shr:8 row_mask:0xf bank_mask:0xc
	s_and_saveexec_b64 s[6:7], s[2:3]
	s_cbranch_execz .LBB13_60
; %bb.56:                               ;   in Loop: Header=BB13_9 Depth=1
	s_mov_b64 s[8:9], exec
	v_min_i32_e32 v2, v3, v2
	s_brev_b32 s36, -2
.LBB13_57:                              ;   Parent Loop BB13_9 Depth=1
                                        ; =>  This Inner Loop Header: Depth=2
	s_ff1_i32_b64 s37, s[8:9]
	v_readlane_b32 s40, v2, s37
	s_lshl_b64 s[38:39], 1, s37
	s_min_i32 s36, s36, s40
	s_andn2_b64 s[8:9], s[8:9], s[38:39]
	s_cmp_lg_u64 s[8:9], 0
	s_cbranch_scc1 .LBB13_57
; %bb.58:                               ;   in Loop: Header=BB13_9 Depth=1
	v_mbcnt_lo_u32_b32 v2, exec_lo, 0
	v_mbcnt_hi_u32_b32 v2, exec_hi, v2
	v_cmp_eq_u32_e32 vcc, 0, v2
	s_and_saveexec_b64 s[8:9], vcc
	s_xor_b64 s[8:9], exec, s[8:9]
	s_cbranch_execz .LBB13_60
; %bb.59:                               ;   in Loop: Header=BB13_9 Depth=1
	v_mov_b32_e32 v2, s36
	ds_min_i32 v11, v2 offset:2048
.LBB13_60:                              ;   in Loop: Header=BB13_9 Depth=1
	s_or_b64 exec, exec, s[6:7]
	s_mov_b64 s[6:7], 0
	v_mov_b32_e32 v2, 0
	v_mov_b32_e32 v3, v10
	s_waitcnt lgkmcnt(0)
	s_barrier
.LBB13_61:                              ;   Parent Loop BB13_9 Depth=1
                                        ; =>  This Inner Loop Header: Depth=2
	ds_read_u8 v4, v3 offset:512
	v_add_u32_e32 v3, 0x200, v3
	v_cmp_lt_u32_e32 vcc, s53, v3
	s_or_b64 s[6:7], vcc, s[6:7]
	s_waitcnt lgkmcnt(0)
	v_add_u32_e32 v2, v2, v4
	s_andn2_b64 exec, exec, s[6:7]
	s_cbranch_execnz .LBB13_61
; %bb.62:                               ;   in Loop: Header=BB13_9 Depth=1
	s_or_b64 exec, exec, s[6:7]
	v_mov_b32_dpp v3, v2 row_shr:1 row_mask:0xf bank_mask:0xf
	v_add_u32_e32 v2, v3, v2
	s_nop 1
	v_mov_b32_dpp v3, v2 row_shr:2 row_mask:0xf bank_mask:0xf
	v_add_u32_e32 v2, v2, v3
	s_nop 1
	;; [unrolled: 3-line block ×3, first 2 shown]
	v_mov_b32_dpp v3, v2 row_shr:8 row_mask:0xf bank_mask:0xc
	s_and_saveexec_b64 s[6:7], s[2:3]
	s_cbranch_execz .LBB13_8
; %bb.63:                               ;   in Loop: Header=BB13_9 Depth=1
	s_mov_b64 s[8:9], exec
	v_add_u32_e32 v2, v2, v3
	s_mov_b32 s36, 0
.LBB13_64:                              ;   Parent Loop BB13_9 Depth=1
                                        ; =>  This Inner Loop Header: Depth=2
	s_ff1_i32_b64 s37, s[8:9]
	v_readlane_b32 s40, v2, s37
	s_lshl_b64 s[38:39], 1, s37
	s_add_i32 s36, s36, s40
	s_andn2_b64 s[8:9], s[8:9], s[38:39]
	s_cmp_lg_u64 s[8:9], 0
	s_cbranch_scc1 .LBB13_64
; %bb.65:                               ;   in Loop: Header=BB13_9 Depth=1
	v_mbcnt_lo_u32_b32 v2, exec_lo, 0
	v_mbcnt_hi_u32_b32 v2, exec_hi, v2
	v_cmp_eq_u32_e32 vcc, 0, v2
	s_and_saveexec_b64 s[8:9], vcc
	s_xor_b64 s[8:9], exec, s[8:9]
	s_cbranch_execz .LBB13_8
; %bb.66:                               ;   in Loop: Header=BB13_9 Depth=1
	v_mov_b32_e32 v2, s36
	ds_add_u32 v11, v2 offset:2052
	s_branch .LBB13_8
.LBB13_67:
	s_and_saveexec_b64 s[2:3], s[0:1]
	s_cbranch_execz .LBB13_69
; %bb.68:
	s_load_dwordx2 s[0:1], s[4:5], 0x48
	v_mov_b32_e32 v0, 0
	ds_read_b32 v1, v0 offset:2052
	s_ashr_i32 s11, s10, 31
	s_lshl_b64 s[2:3], s[10:11], 2
	s_waitcnt lgkmcnt(0)
	s_add_u32 s0, s0, s2
	s_addc_u32 s1, s1, s3
	global_store_dword v0, v1, s[0:1]
.LBB13_69:
	s_endpgm
	.section	.rodata,"a",@progbits
	.p2align	6, 0x0
	.amdhsa_kernel _ZN9rocsparseL35csrgemm_nnz_block_per_row_multipassILj512ELj16ELj2048EiiEEvT3_PKS1_S3_PKT2_S3_S6_S3_S6_S3_PS4_S7_21rocsparse_index_base_S8_S8_bb
		.amdhsa_group_segment_fixed_size 2056
		.amdhsa_private_segment_fixed_size 0
		.amdhsa_kernarg_size 104
		.amdhsa_user_sgpr_count 6
		.amdhsa_user_sgpr_private_segment_buffer 1
		.amdhsa_user_sgpr_dispatch_ptr 0
		.amdhsa_user_sgpr_queue_ptr 0
		.amdhsa_user_sgpr_kernarg_segment_ptr 1
		.amdhsa_user_sgpr_dispatch_id 0
		.amdhsa_user_sgpr_flat_scratch_init 0
		.amdhsa_user_sgpr_kernarg_preload_length 0
		.amdhsa_user_sgpr_kernarg_preload_offset 0
		.amdhsa_user_sgpr_private_segment_size 0
		.amdhsa_uses_dynamic_stack 0
		.amdhsa_system_sgpr_private_segment_wavefront_offset 0
		.amdhsa_system_sgpr_workgroup_id_x 1
		.amdhsa_system_sgpr_workgroup_id_y 0
		.amdhsa_system_sgpr_workgroup_id_z 0
		.amdhsa_system_sgpr_workgroup_info 0
		.amdhsa_system_vgpr_workitem_id 0
		.amdhsa_next_free_vgpr 20
		.amdhsa_next_free_sgpr 56
		.amdhsa_accum_offset 20
		.amdhsa_reserve_vcc 1
		.amdhsa_reserve_flat_scratch 0
		.amdhsa_float_round_mode_32 0
		.amdhsa_float_round_mode_16_64 0
		.amdhsa_float_denorm_mode_32 3
		.amdhsa_float_denorm_mode_16_64 3
		.amdhsa_dx10_clamp 1
		.amdhsa_ieee_mode 1
		.amdhsa_fp16_overflow 0
		.amdhsa_tg_split 0
		.amdhsa_exception_fp_ieee_invalid_op 0
		.amdhsa_exception_fp_denorm_src 0
		.amdhsa_exception_fp_ieee_div_zero 0
		.amdhsa_exception_fp_ieee_overflow 0
		.amdhsa_exception_fp_ieee_underflow 0
		.amdhsa_exception_fp_ieee_inexact 0
		.amdhsa_exception_int_div_zero 0
	.end_amdhsa_kernel
	.section	.text._ZN9rocsparseL35csrgemm_nnz_block_per_row_multipassILj512ELj16ELj2048EiiEEvT3_PKS1_S3_PKT2_S3_S6_S3_S6_S3_PS4_S7_21rocsparse_index_base_S8_S8_bb,"axG",@progbits,_ZN9rocsparseL35csrgemm_nnz_block_per_row_multipassILj512ELj16ELj2048EiiEEvT3_PKS1_S3_PKT2_S3_S6_S3_S6_S3_PS4_S7_21rocsparse_index_base_S8_S8_bb,comdat
.Lfunc_end13:
	.size	_ZN9rocsparseL35csrgemm_nnz_block_per_row_multipassILj512ELj16ELj2048EiiEEvT3_PKS1_S3_PKT2_S3_S6_S3_S6_S3_PS4_S7_21rocsparse_index_base_S8_S8_bb, .Lfunc_end13-_ZN9rocsparseL35csrgemm_nnz_block_per_row_multipassILj512ELj16ELj2048EiiEEvT3_PKS1_S3_PKT2_S3_S6_S3_S6_S3_PS4_S7_21rocsparse_index_base_S8_S8_bb
                                        ; -- End function
	.section	.AMDGPU.csdata,"",@progbits
; Kernel info:
; codeLenInByte = 1868
; NumSgprs: 60
; NumVgprs: 20
; NumAgprs: 0
; TotalNumVgprs: 20
; ScratchSize: 0
; MemoryBound: 0
; FloatMode: 240
; IeeeMode: 1
; LDSByteSize: 2056 bytes/workgroup (compile time only)
; SGPRBlocks: 7
; VGPRBlocks: 2
; NumSGPRsForWavesPerEU: 60
; NumVGPRsForWavesPerEU: 20
; AccumOffset: 20
; Occupancy: 8
; WaveLimiterHint : 1
; COMPUTE_PGM_RSRC2:SCRATCH_EN: 0
; COMPUTE_PGM_RSRC2:USER_SGPR: 6
; COMPUTE_PGM_RSRC2:TRAP_HANDLER: 0
; COMPUTE_PGM_RSRC2:TGID_X_EN: 1
; COMPUTE_PGM_RSRC2:TGID_Y_EN: 0
; COMPUTE_PGM_RSRC2:TGID_Z_EN: 0
; COMPUTE_PGM_RSRC2:TIDIG_COMP_CNT: 0
; COMPUTE_PGM_RSRC3_GFX90A:ACCUM_OFFSET: 4
; COMPUTE_PGM_RSRC3_GFX90A:TG_SPLIT: 0
	.section	.text._ZN9rocsparseL18csrgemm_index_baseILj1EiEEvPT0_,"axG",@progbits,_ZN9rocsparseL18csrgemm_index_baseILj1EiEEvPT0_,comdat
	.globl	_ZN9rocsparseL18csrgemm_index_baseILj1EiEEvPT0_ ; -- Begin function _ZN9rocsparseL18csrgemm_index_baseILj1EiEEvPT0_
	.p2align	8
	.type	_ZN9rocsparseL18csrgemm_index_baseILj1EiEEvPT0_,@function
_ZN9rocsparseL18csrgemm_index_baseILj1EiEEvPT0_: ; @_ZN9rocsparseL18csrgemm_index_baseILj1EiEEvPT0_
; %bb.0:
	s_load_dwordx2 s[0:1], s[4:5], 0x0
	v_mov_b32_e32 v0, 0
	s_waitcnt lgkmcnt(0)
	s_load_dword s2, s[0:1], 0x0
	s_waitcnt lgkmcnt(0)
	s_add_i32 s2, s2, -1
	v_mov_b32_e32 v1, s2
	global_store_dword v0, v1, s[0:1]
	s_endpgm
	.section	.rodata,"a",@progbits
	.p2align	6, 0x0
	.amdhsa_kernel _ZN9rocsparseL18csrgemm_index_baseILj1EiEEvPT0_
		.amdhsa_group_segment_fixed_size 0
		.amdhsa_private_segment_fixed_size 0
		.amdhsa_kernarg_size 8
		.amdhsa_user_sgpr_count 6
		.amdhsa_user_sgpr_private_segment_buffer 1
		.amdhsa_user_sgpr_dispatch_ptr 0
		.amdhsa_user_sgpr_queue_ptr 0
		.amdhsa_user_sgpr_kernarg_segment_ptr 1
		.amdhsa_user_sgpr_dispatch_id 0
		.amdhsa_user_sgpr_flat_scratch_init 0
		.amdhsa_user_sgpr_kernarg_preload_length 0
		.amdhsa_user_sgpr_kernarg_preload_offset 0
		.amdhsa_user_sgpr_private_segment_size 0
		.amdhsa_uses_dynamic_stack 0
		.amdhsa_system_sgpr_private_segment_wavefront_offset 0
		.amdhsa_system_sgpr_workgroup_id_x 1
		.amdhsa_system_sgpr_workgroup_id_y 0
		.amdhsa_system_sgpr_workgroup_id_z 0
		.amdhsa_system_sgpr_workgroup_info 0
		.amdhsa_system_vgpr_workitem_id 0
		.amdhsa_next_free_vgpr 2
		.amdhsa_next_free_sgpr 6
		.amdhsa_accum_offset 4
		.amdhsa_reserve_vcc 0
		.amdhsa_reserve_flat_scratch 0
		.amdhsa_float_round_mode_32 0
		.amdhsa_float_round_mode_16_64 0
		.amdhsa_float_denorm_mode_32 3
		.amdhsa_float_denorm_mode_16_64 3
		.amdhsa_dx10_clamp 1
		.amdhsa_ieee_mode 1
		.amdhsa_fp16_overflow 0
		.amdhsa_tg_split 0
		.amdhsa_exception_fp_ieee_invalid_op 0
		.amdhsa_exception_fp_denorm_src 0
		.amdhsa_exception_fp_ieee_div_zero 0
		.amdhsa_exception_fp_ieee_overflow 0
		.amdhsa_exception_fp_ieee_underflow 0
		.amdhsa_exception_fp_ieee_inexact 0
		.amdhsa_exception_int_div_zero 0
	.end_amdhsa_kernel
	.section	.text._ZN9rocsparseL18csrgemm_index_baseILj1EiEEvPT0_,"axG",@progbits,_ZN9rocsparseL18csrgemm_index_baseILj1EiEEvPT0_,comdat
.Lfunc_end14:
	.size	_ZN9rocsparseL18csrgemm_index_baseILj1EiEEvPT0_, .Lfunc_end14-_ZN9rocsparseL18csrgemm_index_baseILj1EiEEvPT0_
                                        ; -- End function
	.section	.AMDGPU.csdata,"",@progbits
; Kernel info:
; codeLenInByte = 48
; NumSgprs: 10
; NumVgprs: 2
; NumAgprs: 0
; TotalNumVgprs: 2
; ScratchSize: 0
; MemoryBound: 0
; FloatMode: 240
; IeeeMode: 1
; LDSByteSize: 0 bytes/workgroup (compile time only)
; SGPRBlocks: 1
; VGPRBlocks: 0
; NumSGPRsForWavesPerEU: 10
; NumVGPRsForWavesPerEU: 2
; AccumOffset: 4
; Occupancy: 8
; WaveLimiterHint : 0
; COMPUTE_PGM_RSRC2:SCRATCH_EN: 0
; COMPUTE_PGM_RSRC2:USER_SGPR: 6
; COMPUTE_PGM_RSRC2:TRAP_HANDLER: 0
; COMPUTE_PGM_RSRC2:TGID_X_EN: 1
; COMPUTE_PGM_RSRC2:TGID_Y_EN: 0
; COMPUTE_PGM_RSRC2:TGID_Z_EN: 0
; COMPUTE_PGM_RSRC2:TIDIG_COMP_CNT: 0
; COMPUTE_PGM_RSRC3_GFX90A:ACCUM_OFFSET: 0
; COMPUTE_PGM_RSRC3_GFX90A:TG_SPLIT: 0
	.section	.text._ZN9rocsparseL29csrgemm_intermediate_productsILj256ELj8EilEEvT2_PKT1_PKS1_S4_S4_PS2_21rocsparse_index_base_bb,"axG",@progbits,_ZN9rocsparseL29csrgemm_intermediate_productsILj256ELj8EilEEvT2_PKT1_PKS1_S4_S4_PS2_21rocsparse_index_base_bb,comdat
	.globl	_ZN9rocsparseL29csrgemm_intermediate_productsILj256ELj8EilEEvT2_PKT1_PKS1_S4_S4_PS2_21rocsparse_index_base_bb ; -- Begin function _ZN9rocsparseL29csrgemm_intermediate_productsILj256ELj8EilEEvT2_PKT1_PKS1_S4_S4_PS2_21rocsparse_index_base_bb
	.p2align	8
	.type	_ZN9rocsparseL29csrgemm_intermediate_productsILj256ELj8EilEEvT2_PKT1_PKS1_S4_S4_PS2_21rocsparse_index_base_bb,@function
_ZN9rocsparseL29csrgemm_intermediate_productsILj256ELj8EilEEvT2_PKT1_PKS1_S4_S4_PS2_21rocsparse_index_base_bb: ; @_ZN9rocsparseL29csrgemm_intermediate_productsILj256ELj8EilEEvT2_PKT1_PKS1_S4_S4_PS2_21rocsparse_index_base_bb
; %bb.0:
	s_load_dwordx2 s[0:1], s[4:5], 0x0
	v_lshl_or_b32 v1, s6, 8, v0
	v_lshrrev_b32_e32 v2, 3, v1
	v_mov_b32_e32 v3, 0
	s_waitcnt lgkmcnt(0)
	v_cmp_gt_i64_e32 vcc, s[0:1], v[2:3]
	s_and_saveexec_b64 s[0:1], vcc
	s_cbranch_execz .LBB15_11
; %bb.1:
	s_load_dwordx2 s[6:7], s[4:5], 0x30
	s_load_dwordx4 s[0:3], s[4:5], 0x20
	v_and_b32_e32 v3, 7, v0
	v_mov_b32_e32 v0, 0
	v_lshlrev_b32_e32 v2, 2, v2
	s_waitcnt lgkmcnt(0)
	s_bitcmp0_b32 s7, 0
	s_cbranch_scc1 .LBB15_7
; %bb.2:
	s_load_dwordx2 s[8:9], s[4:5], 0x8
	v_subrev_u32_e32 v5, s6, v3
	s_waitcnt lgkmcnt(0)
	global_load_dwordx2 v[0:1], v2, s[8:9]
	s_waitcnt vmcnt(0)
	v_subrev_u32_e32 v4, s6, v1
	v_add_u32_e32 v0, v5, v0
	v_cmp_lt_i32_e32 vcc, v0, v4
	v_mov_b32_e32 v5, 0
	s_and_saveexec_b64 s[12:13], vcc
	s_cbranch_execz .LBB15_6
; %bb.3:
	s_load_dwordx4 s[8:11], s[4:5], 0x10
	s_mov_b32 s7, 0
	s_mov_b64 s[14:15], 0
	v_mov_b32_e32 v5, 0
	v_mov_b32_e32 v6, s7
	s_waitcnt lgkmcnt(0)
	v_mov_b32_e32 v7, s9
	v_mov_b32_e32 v8, s11
.LBB15_4:                               ; =>This Inner Loop Header: Depth=1
	v_ashrrev_i32_e32 v1, 31, v0
	v_lshlrev_b64 v[10:11], 3, v[0:1]
	v_add_co_u32_e32 v10, vcc, s8, v10
	v_addc_co_u32_e32 v11, vcc, v7, v11, vcc
	global_load_dwordx2 v[10:11], v[10:11], off
	v_add_u32_e32 v0, 8, v0
	s_waitcnt vmcnt(0)
	v_subrev_co_u32_e32 v10, vcc, s6, v10
	v_subb_co_u32_e32 v11, vcc, v11, v6, vcc
	v_lshlrev_b64 v[10:11], 2, v[10:11]
	v_add_co_u32_e32 v10, vcc, s10, v10
	v_addc_co_u32_e32 v11, vcc, v8, v11, vcc
	global_load_dwordx2 v[10:11], v[10:11], off
	v_cmp_ge_i32_e32 vcc, v0, v4
	s_or_b64 s[14:15], vcc, s[14:15]
	s_waitcnt vmcnt(0)
	v_add_u32_e32 v1, v11, v5
	v_sub_u32_e32 v5, v1, v10
	s_andn2_b64 exec, exec, s[14:15]
	s_cbranch_execnz .LBB15_4
; %bb.5:
	s_or_b64 exec, exec, s[14:15]
.LBB15_6:
	s_or_b64 exec, exec, s[12:13]
	v_mov_b32_dpp v0, v5 row_shr:1 row_mask:0xf bank_mask:0xf
	v_add_u32_e32 v0, v0, v5
	s_nop 1
	v_mov_b32_dpp v1, v0 row_shr:2 row_mask:0xf bank_mask:0xf
	v_add_u32_e32 v0, v0, v1
	s_nop 1
	v_mov_b32_dpp v1, v0 row_shr:4 row_mask:0xf bank_mask:0xe
	v_add_u32_e32 v0, v0, v1
.LBB15_7:
	v_cmp_eq_u32_e32 vcc, 7, v3
	s_and_b64 exec, exec, vcc
	s_cbranch_execz .LBB15_11
; %bb.8:
	s_load_dword s4, s[4:5], 0x34
	s_waitcnt lgkmcnt(0)
	s_bfe_u32 s4, s4, 0x10008
	s_cmp_eq_u32 s4, 0
	s_cbranch_scc1 .LBB15_10
; %bb.9:
	global_load_dwordx2 v[4:5], v2, s[0:1]
	s_waitcnt vmcnt(0)
	v_add_u32_e32 v0, v5, v0
	v_sub_u32_e32 v0, v0, v4
.LBB15_10:
	global_store_dword v2, v0, s[2:3]
.LBB15_11:
	s_endpgm
	.section	.rodata,"a",@progbits
	.p2align	6, 0x0
	.amdhsa_kernel _ZN9rocsparseL29csrgemm_intermediate_productsILj256ELj8EilEEvT2_PKT1_PKS1_S4_S4_PS2_21rocsparse_index_base_bb
		.amdhsa_group_segment_fixed_size 0
		.amdhsa_private_segment_fixed_size 0
		.amdhsa_kernarg_size 56
		.amdhsa_user_sgpr_count 6
		.amdhsa_user_sgpr_private_segment_buffer 1
		.amdhsa_user_sgpr_dispatch_ptr 0
		.amdhsa_user_sgpr_queue_ptr 0
		.amdhsa_user_sgpr_kernarg_segment_ptr 1
		.amdhsa_user_sgpr_dispatch_id 0
		.amdhsa_user_sgpr_flat_scratch_init 0
		.amdhsa_user_sgpr_kernarg_preload_length 0
		.amdhsa_user_sgpr_kernarg_preload_offset 0
		.amdhsa_user_sgpr_private_segment_size 0
		.amdhsa_uses_dynamic_stack 0
		.amdhsa_system_sgpr_private_segment_wavefront_offset 0
		.amdhsa_system_sgpr_workgroup_id_x 1
		.amdhsa_system_sgpr_workgroup_id_y 0
		.amdhsa_system_sgpr_workgroup_id_z 0
		.amdhsa_system_sgpr_workgroup_info 0
		.amdhsa_system_vgpr_workitem_id 0
		.amdhsa_next_free_vgpr 12
		.amdhsa_next_free_sgpr 16
		.amdhsa_accum_offset 12
		.amdhsa_reserve_vcc 1
		.amdhsa_reserve_flat_scratch 0
		.amdhsa_float_round_mode_32 0
		.amdhsa_float_round_mode_16_64 0
		.amdhsa_float_denorm_mode_32 3
		.amdhsa_float_denorm_mode_16_64 3
		.amdhsa_dx10_clamp 1
		.amdhsa_ieee_mode 1
		.amdhsa_fp16_overflow 0
		.amdhsa_tg_split 0
		.amdhsa_exception_fp_ieee_invalid_op 0
		.amdhsa_exception_fp_denorm_src 0
		.amdhsa_exception_fp_ieee_div_zero 0
		.amdhsa_exception_fp_ieee_overflow 0
		.amdhsa_exception_fp_ieee_underflow 0
		.amdhsa_exception_fp_ieee_inexact 0
		.amdhsa_exception_int_div_zero 0
	.end_amdhsa_kernel
	.section	.text._ZN9rocsparseL29csrgemm_intermediate_productsILj256ELj8EilEEvT2_PKT1_PKS1_S4_S4_PS2_21rocsparse_index_base_bb,"axG",@progbits,_ZN9rocsparseL29csrgemm_intermediate_productsILj256ELj8EilEEvT2_PKT1_PKS1_S4_S4_PS2_21rocsparse_index_base_bb,comdat
.Lfunc_end15:
	.size	_ZN9rocsparseL29csrgemm_intermediate_productsILj256ELj8EilEEvT2_PKT1_PKS1_S4_S4_PS2_21rocsparse_index_base_bb, .Lfunc_end15-_ZN9rocsparseL29csrgemm_intermediate_productsILj256ELj8EilEEvT2_PKT1_PKS1_S4_S4_PS2_21rocsparse_index_base_bb
                                        ; -- End function
	.section	.AMDGPU.csdata,"",@progbits
; Kernel info:
; codeLenInByte = 388
; NumSgprs: 20
; NumVgprs: 12
; NumAgprs: 0
; TotalNumVgprs: 12
; ScratchSize: 0
; MemoryBound: 0
; FloatMode: 240
; IeeeMode: 1
; LDSByteSize: 0 bytes/workgroup (compile time only)
; SGPRBlocks: 2
; VGPRBlocks: 1
; NumSGPRsForWavesPerEU: 20
; NumVGPRsForWavesPerEU: 12
; AccumOffset: 12
; Occupancy: 8
; WaveLimiterHint : 1
; COMPUTE_PGM_RSRC2:SCRATCH_EN: 0
; COMPUTE_PGM_RSRC2:USER_SGPR: 6
; COMPUTE_PGM_RSRC2:TRAP_HANDLER: 0
; COMPUTE_PGM_RSRC2:TGID_X_EN: 1
; COMPUTE_PGM_RSRC2:TGID_Y_EN: 0
; COMPUTE_PGM_RSRC2:TGID_Z_EN: 0
; COMPUTE_PGM_RSRC2:TIDIG_COMP_CNT: 0
; COMPUTE_PGM_RSRC3_GFX90A:ACCUM_OFFSET: 2
; COMPUTE_PGM_RSRC3_GFX90A:TG_SPLIT: 0
	.section	.text._ZN9rocsparseL26csrgemm_group_reduce_part1ILj256ELj11EilEEvT2_PT1_PS1_j,"axG",@progbits,_ZN9rocsparseL26csrgemm_group_reduce_part1ILj256ELj11EilEEvT2_PT1_PS1_j,comdat
	.globl	_ZN9rocsparseL26csrgemm_group_reduce_part1ILj256ELj11EilEEvT2_PT1_PS1_j ; -- Begin function _ZN9rocsparseL26csrgemm_group_reduce_part1ILj256ELj11EilEEvT2_PT1_PS1_j
	.p2align	8
	.type	_ZN9rocsparseL26csrgemm_group_reduce_part1ILj256ELj11EilEEvT2_PT1_PS1_j,@function
_ZN9rocsparseL26csrgemm_group_reduce_part1ILj256ELj11EilEEvT2_PT1_PS1_j: ; @_ZN9rocsparseL26csrgemm_group_reduce_part1ILj256ELj11EilEEvT2_PT1_PS1_j
; %bb.0:
	s_mov_b32 s9, 0
	s_load_dwordx2 s[2:3], s[4:5], 0x0
	s_load_dwordx2 s[0:1], s[4:5], 0x10
	v_mul_u32_u24_e32 v1, 11, v0
	s_mov_b32 s8, s9
	s_mov_b32 s10, s9
	s_mov_b32 s11, s9
	v_lshlrev_b32_e32 v1, 3, v1
	v_pk_mov_b32 v[4:5], s[8:9], s[8:9] op_sel:[0,1]
	v_pk_mov_b32 v[6:7], s[10:11], s[10:11] op_sel:[0,1]
	ds_write2_b64 v1, v[4:5], v[6:7] offset1:1
	ds_write2_b64 v1, v[4:5], v[6:7] offset0:2 offset1:3
	ds_write2_b64 v1, v[4:5], v[6:7] offset0:4 offset1:5
	;; [unrolled: 1-line block ×4, first 2 shown]
	v_mov_b32_e32 v4, 0
	v_lshl_or_b32 v2, s6, 8, v0
	v_mov_b32_e32 v3, v4
	v_mov_b32_e32 v5, v4
	s_waitcnt lgkmcnt(0)
	v_cmp_gt_i64_e32 vcc, s[2:3], v[2:3]
	ds_write_b64 v1, v[4:5] offset:80
	s_waitcnt lgkmcnt(0)
	s_and_saveexec_b64 s[10:11], vcc
	s_cbranch_execz .LBB16_21
; %bb.1:
	s_load_dwordx2 s[16:17], s[4:5], 0x8
	s_load_dword s7, s[4:5], 0x18
	s_load_dword s8, s[4:5], 0x20
	v_lshlrev_b64 v[4:5], 2, v[2:3]
	v_add_u32_e32 v6, 16, v1
	s_waitcnt lgkmcnt(0)
	v_mov_b32_e32 v16, s17
	s_cmp_lt_u32 s7, 0x20000
	s_cselect_b64 s[4:5], -1, 0
	s_cmp_lt_u32 s7, 0x40000
	s_cselect_b64 s[12:13], -1, 0
	;; [unrolled: 2-line block ×3, first 2 shown]
	s_lshl_b32 s8, s8, 8
	v_add_co_u32_e32 v4, vcc, s16, v4
	s_lshl_b64 s[16:17], s[8:9], 2
	v_add_u32_e32 v7, 32, v1
	v_add_u32_e32 v8, 48, v1
	;; [unrolled: 1-line block ×9, first 2 shown]
	v_addc_co_u32_e32 v5, vcc, v16, v5, vcc
	s_mov_b64 s[18:19], 0
	s_movk_i32 s7, 0x200
	s_movk_i32 s33, 0x400
	;; [unrolled: 1-line block ×6, first 2 shown]
	s_mov_b32 s44, 0x8000
	s_mov_b32 s45, 0x10000
	v_mov_b32_e32 v16, s9
	v_mov_b32_e32 v17, s17
	s_branch .LBB16_11
.LBB16_2:                               ;   in Loop: Header=BB16_11 Depth=1
	s_or_b64 exec, exec, s[38:39]
.LBB16_3:                               ;   in Loop: Header=BB16_11 Depth=1
	s_or_b64 exec, exec, s[36:37]
.LBB16_4:                               ;   in Loop: Header=BB16_11 Depth=1
	s_or_b64 exec, exec, s[34:35]
.LBB16_5:                               ;   in Loop: Header=BB16_11 Depth=1
	s_or_b64 exec, exec, s[30:31]
.LBB16_6:                               ;   in Loop: Header=BB16_11 Depth=1
	s_or_b64 exec, exec, s[28:29]
.LBB16_7:                               ;   in Loop: Header=BB16_11 Depth=1
	s_or_b64 exec, exec, s[26:27]
.LBB16_8:                               ;   in Loop: Header=BB16_11 Depth=1
	s_or_b64 exec, exec, s[24:25]
.LBB16_9:                               ;   in Loop: Header=BB16_11 Depth=1
	s_or_b64 exec, exec, s[22:23]
.LBB16_10:                              ;   in Loop: Header=BB16_11 Depth=1
	s_or_b64 exec, exec, s[20:21]
	ds_read_b64 v[20:21], v19
	global_store_dword v[4:5], v18, off
	s_waitcnt lgkmcnt(0)
	v_add_co_u32_e32 v20, vcc, 1, v20
	v_addc_co_u32_e32 v21, vcc, 0, v21, vcc
	v_add_co_u32_e32 v2, vcc, s8, v2
	v_addc_co_u32_e32 v3, vcc, v3, v16, vcc
	v_cmp_le_i64_e32 vcc, s[2:3], v[2:3]
	s_or_b64 s[18:19], vcc, s[18:19]
	v_add_co_u32_e32 v4, vcc, s16, v4
	v_addc_co_u32_e32 v5, vcc, v5, v17, vcc
	ds_write_b64 v19, v[20:21]
	s_andn2_b64 exec, exec, s[18:19]
	s_cbranch_execz .LBB16_21
.LBB16_11:                              ; =>This Inner Loop Header: Depth=1
	global_load_dword v20, v[4:5], off
	v_mov_b32_e32 v18, 0
	v_mov_b32_e32 v19, v1
	s_waitcnt vmcnt(0)
	v_cmp_lt_i32_e32 vcc, 32, v20
	s_and_saveexec_b64 s[20:21], vcc
	s_cbranch_execz .LBB16_10
; %bb.12:                               ;   in Loop: Header=BB16_11 Depth=1
	v_cmp_lt_u32_e32 vcc, 64, v20
	v_mov_b32_e32 v18, 1
	v_mov_b32_e32 v19, v11
	s_and_saveexec_b64 s[22:23], vcc
	s_cbranch_execz .LBB16_9
; %bb.13:                               ;   in Loop: Header=BB16_11 Depth=1
	v_cmp_lt_u32_e32 vcc, s7, v20
	v_mov_b32_e32 v18, 2
	v_mov_b32_e32 v19, v6
	;; [unrolled: 6-line block ×6, first 2 shown]
	s_and_saveexec_b64 s[34:35], vcc
	s_cbranch_execz .LBB16_4
; %bb.18:                               ;   in Loop: Header=BB16_11 Depth=1
	v_cmp_lt_u32_e32 vcc, s43, v20
	s_or_b64 s[38:39], s[4:5], vcc
	v_mov_b32_e32 v18, 7
	v_mov_b32_e32 v19, v14
	s_and_saveexec_b64 s[36:37], s[38:39]
	s_cbranch_execz .LBB16_3
; %bb.19:                               ;   in Loop: Header=BB16_11 Depth=1
	v_cmp_lt_u32_e32 vcc, s44, v20
	s_or_b64 s[46:47], s[12:13], vcc
	v_mov_b32_e32 v18, 8
	v_mov_b32_e32 v19, v9
	s_and_saveexec_b64 s[38:39], s[46:47]
	s_cbranch_execz .LBB16_2
; %bb.20:                               ;   in Loop: Header=BB16_11 Depth=1
	v_cmp_lt_u32_e32 vcc, s45, v20
	s_or_b64 vcc, s[14:15], vcc
	v_cndmask_b32_e32 v19, v15, v10, vcc
	v_cndmask_b32_e64 v18, 9, 10, vcc
	s_branch .LBB16_2
.LBB16_21:
	s_or_b64 exec, exec, s[10:11]
	s_movk_i32 s2, 0x80
	v_cmp_gt_u32_e32 vcc, s2, v0
	s_waitcnt lgkmcnt(0)
	s_barrier
	s_barrier
	;; [unrolled: 1-line block ×3, first 2 shown]
	s_and_saveexec_b64 s[2:3], vcc
	s_cbranch_execz .LBB16_23
; %bb.22:
	v_add_u32_e32 v2, 0x2c00, v1
	ds_read2_b64 v[2:5], v2 offset1:1
	ds_read2_b64 v[6:9], v1 offset1:1
	ds_read2_b64 v[10:13], v1 offset0:2 offset1:3
	ds_read2_b64 v[14:17], v1 offset0:8 offset1:9
	;; [unrolled: 1-line block ×3, first 2 shown]
	s_waitcnt lgkmcnt(3)
	v_add_co_u32_e32 v6, vcc, v6, v2
	v_addc_co_u32_e32 v7, vcc, v7, v3, vcc
	v_add_co_u32_e32 v8, vcc, v8, v4
	v_add_u32_e32 v2, 0x2c10, v1
	v_addc_co_u32_e32 v9, vcc, v9, v5, vcc
	ds_read2_b64 v[2:5], v2 offset1:1
	ds_write2_b64 v1, v[6:7], v[8:9] offset1:1
	v_add_u32_e32 v6, 0x2c20, v1
	ds_read2_b64 v[6:9], v6 offset1:1
	s_waitcnt lgkmcnt(2)
	v_add_co_u32_e32 v2, vcc, v10, v2
	v_addc_co_u32_e32 v3, vcc, v11, v3, vcc
	v_add_co_u32_e32 v4, vcc, v12, v4
	v_addc_co_u32_e32 v5, vcc, v13, v5, vcc
	ds_write2_b64 v1, v[2:3], v[4:5] offset0:2 offset1:3
	ds_read2_b64 v[2:5], v1 offset0:6 offset1:7
	s_waitcnt lgkmcnt(2)
	v_add_co_u32_e32 v10, vcc, v18, v6
	v_addc_co_u32_e32 v11, vcc, v19, v7, vcc
	v_add_co_u32_e32 v12, vcc, v20, v8
	v_add_u32_e32 v6, 0x2c30, v1
	v_addc_co_u32_e32 v13, vcc, v21, v9, vcc
	ds_read2_b64 v[6:9], v6 offset1:1
	ds_write2_b64 v1, v[10:11], v[12:13] offset0:4 offset1:5
	v_add_u32_e32 v10, 0x2c40, v1
	ds_read2_b64 v[10:13], v10 offset1:1
	s_waitcnt lgkmcnt(2)
	v_add_co_u32_e32 v2, vcc, v2, v6
	v_addc_co_u32_e32 v3, vcc, v3, v7, vcc
	v_add_co_u32_e32 v4, vcc, v4, v8
	v_addc_co_u32_e32 v5, vcc, v5, v9, vcc
	ds_write2_b64 v1, v[2:3], v[4:5] offset0:6 offset1:7
	v_add_u32_e32 v2, 0x50, v1
	ds_read2st64_b64 v[2:5], v2 offset1:22
	s_waitcnt lgkmcnt(2)
	v_add_co_u32_e32 v6, vcc, v14, v10
	v_addc_co_u32_e32 v7, vcc, v15, v11, vcc
	v_add_co_u32_e32 v8, vcc, v16, v12
	v_addc_co_u32_e32 v9, vcc, v17, v13, vcc
	s_waitcnt lgkmcnt(0)
	v_add_co_u32_e32 v2, vcc, v2, v4
	v_addc_co_u32_e32 v3, vcc, v3, v5, vcc
	ds_write2_b64 v1, v[6:7], v[8:9] offset0:8 offset1:9
	ds_write_b64 v1, v[2:3] offset:80
.LBB16_23:
	s_or_b64 exec, exec, s[2:3]
	v_cmp_gt_u32_e32 vcc, 64, v0
	s_waitcnt lgkmcnt(0)
	s_barrier
	s_and_saveexec_b64 s[2:3], vcc
	s_cbranch_execz .LBB16_25
; %bb.24:
	v_add_u32_e32 v2, 0x1600, v1
	ds_read2_b64 v[2:5], v2 offset1:1
	ds_read2_b64 v[6:9], v1 offset1:1
	ds_read2_b64 v[10:13], v1 offset0:2 offset1:3
	ds_read2_b64 v[14:17], v1 offset0:8 offset1:9
	;; [unrolled: 1-line block ×3, first 2 shown]
	s_waitcnt lgkmcnt(3)
	v_add_co_u32_e32 v6, vcc, v6, v2
	v_addc_co_u32_e32 v7, vcc, v7, v3, vcc
	v_add_co_u32_e32 v8, vcc, v8, v4
	v_add_u32_e32 v2, 0x1610, v1
	v_addc_co_u32_e32 v9, vcc, v9, v5, vcc
	ds_read2_b64 v[2:5], v2 offset1:1
	ds_write2_b64 v1, v[6:7], v[8:9] offset1:1
	v_add_u32_e32 v6, 0x1620, v1
	ds_read2_b64 v[6:9], v6 offset1:1
	s_waitcnt lgkmcnt(2)
	v_add_co_u32_e32 v2, vcc, v10, v2
	v_addc_co_u32_e32 v3, vcc, v11, v3, vcc
	v_add_co_u32_e32 v4, vcc, v12, v4
	v_addc_co_u32_e32 v5, vcc, v13, v5, vcc
	ds_write2_b64 v1, v[2:3], v[4:5] offset0:2 offset1:3
	ds_read2_b64 v[2:5], v1 offset0:6 offset1:7
	s_waitcnt lgkmcnt(2)
	v_add_co_u32_e32 v10, vcc, v18, v6
	v_addc_co_u32_e32 v11, vcc, v19, v7, vcc
	v_add_co_u32_e32 v12, vcc, v20, v8
	v_add_u32_e32 v6, 0x1630, v1
	v_addc_co_u32_e32 v13, vcc, v21, v9, vcc
	ds_read2_b64 v[6:9], v6 offset1:1
	ds_write2_b64 v1, v[10:11], v[12:13] offset0:4 offset1:5
	v_add_u32_e32 v10, 0x1640, v1
	ds_read2_b64 v[10:13], v10 offset1:1
	s_waitcnt lgkmcnt(2)
	v_add_co_u32_e32 v2, vcc, v2, v6
	v_addc_co_u32_e32 v3, vcc, v3, v7, vcc
	v_add_co_u32_e32 v4, vcc, v4, v8
	v_addc_co_u32_e32 v5, vcc, v5, v9, vcc
	ds_write2_b64 v1, v[2:3], v[4:5] offset0:6 offset1:7
	v_add_u32_e32 v2, 0x50, v1
	ds_read2st64_b64 v[2:5], v2 offset1:11
	s_waitcnt lgkmcnt(2)
	v_add_co_u32_e32 v6, vcc, v14, v10
	v_addc_co_u32_e32 v7, vcc, v15, v11, vcc
	v_add_co_u32_e32 v8, vcc, v16, v12
	v_addc_co_u32_e32 v9, vcc, v17, v13, vcc
	s_waitcnt lgkmcnt(0)
	v_add_co_u32_e32 v2, vcc, v2, v4
	v_addc_co_u32_e32 v3, vcc, v3, v5, vcc
	ds_write2_b64 v1, v[6:7], v[8:9] offset0:8 offset1:9
	ds_write_b64 v1, v[2:3] offset:80
.LBB16_25:
	s_or_b64 exec, exec, s[2:3]
	v_cmp_gt_u32_e32 vcc, 32, v0
	s_waitcnt lgkmcnt(0)
	s_barrier
	s_and_saveexec_b64 s[2:3], vcc
	s_cbranch_execz .LBB16_27
; %bb.26:
	v_add_u32_e32 v2, 0xb00, v1
	ds_read2_b64 v[2:5], v2 offset1:1
	ds_read2_b64 v[6:9], v1 offset1:1
	ds_read2_b64 v[10:13], v1 offset0:2 offset1:3
	ds_read_b64 v[18:19], v1 offset:2896
	ds_read2_b64 v[14:17], v1 offset0:4 offset1:5
	s_waitcnt lgkmcnt(3)
	v_add_co_u32_e32 v6, vcc, v6, v2
	v_addc_co_u32_e32 v7, vcc, v7, v3, vcc
	v_add_co_u32_e32 v8, vcc, v8, v4
	v_add_u32_e32 v2, 0xb10, v1
	v_addc_co_u32_e32 v9, vcc, v9, v5, vcc
	ds_read2_b64 v[2:5], v2 offset1:1
	ds_write2_b64 v1, v[6:7], v[8:9] offset1:1
	v_add_u32_e32 v6, 0xb20, v1
	ds_read2_b64 v[6:9], v6 offset1:1
	s_waitcnt lgkmcnt(2)
	v_add_co_u32_e32 v2, vcc, v10, v2
	v_addc_co_u32_e32 v3, vcc, v11, v3, vcc
	v_add_co_u32_e32 v4, vcc, v12, v4
	v_addc_co_u32_e32 v5, vcc, v13, v5, vcc
	ds_write2_b64 v1, v[2:3], v[4:5] offset0:2 offset1:3
	ds_read2_b64 v[2:5], v1 offset0:6 offset1:7
	s_waitcnt lgkmcnt(2)
	v_add_co_u32_e32 v10, vcc, v14, v6
	v_addc_co_u32_e32 v11, vcc, v15, v7, vcc
	v_add_co_u32_e32 v12, vcc, v16, v8
	v_add_u32_e32 v6, 0xb30, v1
	v_addc_co_u32_e32 v13, vcc, v17, v9, vcc
	ds_read2_b64 v[6:9], v6 offset1:1
	ds_write2_b64 v1, v[10:11], v[12:13] offset0:4 offset1:5
	v_add_u32_e32 v10, 0xb40, v1
	ds_read2_b64 v[10:13], v10 offset1:1
	ds_read2_b64 v[14:17], v1 offset0:8 offset1:9
	s_waitcnt lgkmcnt(3)
	v_add_co_u32_e32 v2, vcc, v2, v6
	v_addc_co_u32_e32 v3, vcc, v3, v7, vcc
	v_add_co_u32_e32 v4, vcc, v4, v8
	v_addc_co_u32_e32 v5, vcc, v5, v9, vcc
	ds_write2_b64 v1, v[2:3], v[4:5] offset0:6 offset1:7
	ds_read_b64 v[2:3], v1 offset:80
	s_waitcnt lgkmcnt(2)
	v_add_co_u32_e32 v4, vcc, v14, v10
	v_addc_co_u32_e32 v5, vcc, v15, v11, vcc
	v_add_co_u32_e32 v6, vcc, v16, v12
	v_addc_co_u32_e32 v7, vcc, v17, v13, vcc
	s_waitcnt lgkmcnt(0)
	v_add_co_u32_e32 v2, vcc, v2, v18
	v_addc_co_u32_e32 v3, vcc, v3, v19, vcc
	ds_write2_b64 v1, v[4:5], v[6:7] offset0:8 offset1:9
	ds_write_b64 v1, v[2:3] offset:80
.LBB16_27:
	s_or_b64 exec, exec, s[2:3]
	v_cmp_gt_u32_e32 vcc, 16, v0
	s_waitcnt lgkmcnt(0)
	s_barrier
	s_and_saveexec_b64 s[2:3], vcc
	s_cbranch_execz .LBB16_29
; %bb.28:
	ds_read2_b64 v[2:5], v1 offset0:176 offset1:177
	ds_read2_b64 v[6:9], v1 offset1:1
	ds_read2_b64 v[10:13], v1 offset0:2 offset1:3
	ds_read2_b64 v[14:17], v1 offset0:8 offset1:9
	ds_read2_b64 v[18:21], v1 offset0:178 offset1:179
	s_waitcnt lgkmcnt(3)
	v_add_co_u32_e32 v2, vcc, v6, v2
	v_addc_co_u32_e32 v3, vcc, v7, v3, vcc
	v_add_co_u32_e32 v4, vcc, v8, v4
	v_addc_co_u32_e32 v5, vcc, v9, v5, vcc
	ds_write2_b64 v1, v[2:3], v[4:5] offset1:1
	ds_read2_b64 v[2:5], v1 offset0:180 offset1:181
	s_waitcnt lgkmcnt(2)
	v_add_co_u32_e32 v10, vcc, v10, v18
	ds_read2_b64 v[6:9], v1 offset0:4 offset1:5
	v_addc_co_u32_e32 v11, vcc, v11, v19, vcc
	v_add_co_u32_e32 v12, vcc, v12, v20
	v_addc_co_u32_e32 v13, vcc, v13, v21, vcc
	ds_write2_b64 v1, v[10:11], v[12:13] offset0:2 offset1:3
	ds_read2_b64 v[10:13], v1 offset0:6 offset1:7
	ds_read2_b64 v[18:21], v1 offset0:182 offset1:183
	s_waitcnt lgkmcnt(3)
	v_add_co_u32_e32 v2, vcc, v6, v2
	v_addc_co_u32_e32 v3, vcc, v7, v3, vcc
	v_add_co_u32_e32 v4, vcc, v8, v4
	v_addc_co_u32_e32 v5, vcc, v9, v5, vcc
	ds_write2_b64 v1, v[2:3], v[4:5] offset0:4 offset1:5
	ds_read2_b64 v[2:5], v1 offset0:184 offset1:185
	s_waitcnt lgkmcnt(2)
	v_add_co_u32_e32 v6, vcc, v10, v18
	v_addc_co_u32_e32 v7, vcc, v11, v19, vcc
	v_add_co_u32_e32 v8, vcc, v12, v20
	v_addc_co_u32_e32 v9, vcc, v13, v21, vcc
	ds_write2_b64 v1, v[6:7], v[8:9] offset0:6 offset1:7
	ds_read2_b64 v[6:9], v1 offset0:10 offset1:186
	s_waitcnt lgkmcnt(2)
	v_add_co_u32_e32 v2, vcc, v14, v2
	v_addc_co_u32_e32 v3, vcc, v15, v3, vcc
	v_add_co_u32_e32 v4, vcc, v16, v4
	v_addc_co_u32_e32 v5, vcc, v17, v5, vcc
	ds_write2_b64 v1, v[2:3], v[4:5] offset0:8 offset1:9
	s_waitcnt lgkmcnt(1)
	v_add_co_u32_e32 v2, vcc, v6, v8
	v_addc_co_u32_e32 v3, vcc, v7, v9, vcc
	ds_write_b64 v1, v[2:3] offset:80
.LBB16_29:
	s_or_b64 exec, exec, s[2:3]
	v_cmp_gt_u32_e32 vcc, 8, v0
	s_waitcnt lgkmcnt(0)
	s_barrier
	s_and_saveexec_b64 s[2:3], vcc
	s_cbranch_execz .LBB16_31
; %bb.30:
	ds_read2_b64 v[2:5], v1 offset0:88 offset1:89
	ds_read2_b64 v[6:9], v1 offset1:1
	ds_read2_b64 v[10:13], v1 offset0:2 offset1:3
	ds_read2_b64 v[14:17], v1 offset0:8 offset1:9
	ds_read2_b64 v[18:21], v1 offset0:90 offset1:91
	s_waitcnt lgkmcnt(3)
	v_add_co_u32_e32 v2, vcc, v6, v2
	v_addc_co_u32_e32 v3, vcc, v7, v3, vcc
	v_add_co_u32_e32 v4, vcc, v8, v4
	v_addc_co_u32_e32 v5, vcc, v9, v5, vcc
	ds_write2_b64 v1, v[2:3], v[4:5] offset1:1
	ds_read2_b64 v[2:5], v1 offset0:92 offset1:93
	s_waitcnt lgkmcnt(2)
	v_add_co_u32_e32 v10, vcc, v10, v18
	ds_read2_b64 v[6:9], v1 offset0:4 offset1:5
	v_addc_co_u32_e32 v11, vcc, v11, v19, vcc
	v_add_co_u32_e32 v12, vcc, v12, v20
	v_addc_co_u32_e32 v13, vcc, v13, v21, vcc
	ds_write2_b64 v1, v[10:11], v[12:13] offset0:2 offset1:3
	ds_read2_b64 v[10:13], v1 offset0:6 offset1:7
	ds_read2_b64 v[18:21], v1 offset0:94 offset1:95
	s_waitcnt lgkmcnt(3)
	v_add_co_u32_e32 v2, vcc, v6, v2
	v_addc_co_u32_e32 v3, vcc, v7, v3, vcc
	v_add_co_u32_e32 v4, vcc, v8, v4
	v_addc_co_u32_e32 v5, vcc, v9, v5, vcc
	ds_write2_b64 v1, v[2:3], v[4:5] offset0:4 offset1:5
	ds_read2_b64 v[2:5], v1 offset0:96 offset1:97
	s_waitcnt lgkmcnt(2)
	v_add_co_u32_e32 v6, vcc, v10, v18
	v_addc_co_u32_e32 v7, vcc, v11, v19, vcc
	v_add_co_u32_e32 v8, vcc, v12, v20
	v_addc_co_u32_e32 v9, vcc, v13, v21, vcc
	ds_write2_b64 v1, v[6:7], v[8:9] offset0:6 offset1:7
	ds_read2_b64 v[6:9], v1 offset0:10 offset1:98
	s_waitcnt lgkmcnt(2)
	v_add_co_u32_e32 v2, vcc, v14, v2
	v_addc_co_u32_e32 v3, vcc, v15, v3, vcc
	v_add_co_u32_e32 v4, vcc, v16, v4
	v_addc_co_u32_e32 v5, vcc, v17, v5, vcc
	ds_write2_b64 v1, v[2:3], v[4:5] offset0:8 offset1:9
	s_waitcnt lgkmcnt(1)
	v_add_co_u32_e32 v2, vcc, v6, v8
	v_addc_co_u32_e32 v3, vcc, v7, v9, vcc
	ds_write_b64 v1, v[2:3] offset:80
.LBB16_31:
	;; [unrolled: 53-line block ×4, first 2 shown]
	s_or_b64 exec, exec, s[2:3]
	v_cmp_eq_u32_e32 vcc, 0, v0
	s_waitcnt lgkmcnt(0)
	s_barrier
	s_and_saveexec_b64 s[2:3], vcc
	s_cbranch_execz .LBB16_37
; %bb.36:
	v_mov_b32_e32 v1, 0
	ds_read_b128 v[2:5], v1 offset:80
	ds_read_b128 v[6:9], v1
	ds_read_b128 v[10:13], v1 offset:16
	ds_read_b128 v[14:17], v1 offset:32
	;; [unrolled: 1-line block ×5, first 2 shown]
	s_waitcnt lgkmcnt(5)
	v_add_co_u32_e32 v4, vcc, v6, v4
	v_addc_co_u32_e32 v5, vcc, v7, v5, vcc
	ds_read_b128 v[30:33], v1 offset:112
	s_waitcnt lgkmcnt(2)
	v_add_co_u32_e32 v6, vcc, v8, v22
	v_addc_co_u32_e32 v7, vcc, v9, v23, vcc
	ds_write_b128 v1, v[4:7]
	v_add_co_u32_e32 v4, vcc, v10, v24
	v_addc_co_u32_e32 v5, vcc, v11, v25, vcc
	s_waitcnt lgkmcnt(1)
	v_add_co_u32_e32 v6, vcc, v12, v30
	v_addc_co_u32_e32 v7, vcc, v13, v31, vcc
	ds_write_b128 v1, v[4:7] offset:16
	ds_read_b128 v[4:7], v1 offset:128
	v_add_co_u32_e32 v8, vcc, v14, v32
	v_addc_co_u32_e32 v9, vcc, v15, v33, vcc
	ds_read_b128 v[12:15], v1 offset:144
	s_waitcnt lgkmcnt(1)
	v_add_co_u32_e32 v10, vcc, v16, v4
	v_addc_co_u32_e32 v11, vcc, v17, v5, vcc
	v_add_co_u32_e32 v4, vcc, v18, v6
	v_addc_co_u32_e32 v5, vcc, v19, v7, vcc
	s_waitcnt lgkmcnt(0)
	v_add_co_u32_e32 v6, vcc, v20, v12
	v_addc_co_u32_e32 v7, vcc, v21, v13, vcc
	ds_write_b128 v1, v[4:7] offset:48
	ds_read_b128 v[4:7], v1 offset:160
	ds_write_b128 v1, v[8:11] offset:32
	v_add_co_u32_e32 v8, vcc, v26, v14
	v_addc_co_u32_e32 v9, vcc, v27, v15, vcc
	s_waitcnt lgkmcnt(1)
	v_add_co_u32_e32 v10, vcc, v28, v4
	v_addc_co_u32_e32 v11, vcc, v29, v5, vcc
	v_add_co_u32_e32 v2, vcc, v2, v6
	v_addc_co_u32_e32 v3, vcc, v3, v7, vcc
	ds_write_b128 v1, v[8:11] offset:64
	ds_write_b64 v1, v[2:3] offset:80
.LBB16_37:
	s_or_b64 exec, exec, s[2:3]
	v_cmp_gt_u32_e32 vcc, 11, v0
	s_waitcnt lgkmcnt(0)
	s_barrier
	s_and_saveexec_b64 s[2:3], vcc
	s_cbranch_execz .LBB16_39
; %bb.38:
	v_mad_u64_u32 v[2:3], s[2:3], s6, 11, v[0:1]
	v_lshlrev_b32_e32 v0, 3, v0
	ds_read_b64 v[0:1], v0
	v_mov_b32_e32 v3, 0
	v_lshlrev_b64 v[2:3], 3, v[2:3]
	v_mov_b32_e32 v4, s1
	v_add_co_u32_e32 v2, vcc, s0, v2
	v_addc_co_u32_e32 v3, vcc, v4, v3, vcc
	s_waitcnt lgkmcnt(0)
	global_store_dwordx2 v[2:3], v[0:1], off
.LBB16_39:
	s_endpgm
	.section	.rodata,"a",@progbits
	.p2align	6, 0x0
	.amdhsa_kernel _ZN9rocsparseL26csrgemm_group_reduce_part1ILj256ELj11EilEEvT2_PT1_PS1_j
		.amdhsa_group_segment_fixed_size 22528
		.amdhsa_private_segment_fixed_size 0
		.amdhsa_kernarg_size 288
		.amdhsa_user_sgpr_count 6
		.amdhsa_user_sgpr_private_segment_buffer 1
		.amdhsa_user_sgpr_dispatch_ptr 0
		.amdhsa_user_sgpr_queue_ptr 0
		.amdhsa_user_sgpr_kernarg_segment_ptr 1
		.amdhsa_user_sgpr_dispatch_id 0
		.amdhsa_user_sgpr_flat_scratch_init 0
		.amdhsa_user_sgpr_kernarg_preload_length 0
		.amdhsa_user_sgpr_kernarg_preload_offset 0
		.amdhsa_user_sgpr_private_segment_size 0
		.amdhsa_uses_dynamic_stack 0
		.amdhsa_system_sgpr_private_segment_wavefront_offset 0
		.amdhsa_system_sgpr_workgroup_id_x 1
		.amdhsa_system_sgpr_workgroup_id_y 0
		.amdhsa_system_sgpr_workgroup_id_z 0
		.amdhsa_system_sgpr_workgroup_info 0
		.amdhsa_system_vgpr_workitem_id 0
		.amdhsa_next_free_vgpr 34
		.amdhsa_next_free_sgpr 48
		.amdhsa_accum_offset 36
		.amdhsa_reserve_vcc 1
		.amdhsa_reserve_flat_scratch 0
		.amdhsa_float_round_mode_32 0
		.amdhsa_float_round_mode_16_64 0
		.amdhsa_float_denorm_mode_32 3
		.amdhsa_float_denorm_mode_16_64 3
		.amdhsa_dx10_clamp 1
		.amdhsa_ieee_mode 1
		.amdhsa_fp16_overflow 0
		.amdhsa_tg_split 0
		.amdhsa_exception_fp_ieee_invalid_op 0
		.amdhsa_exception_fp_denorm_src 0
		.amdhsa_exception_fp_ieee_div_zero 0
		.amdhsa_exception_fp_ieee_overflow 0
		.amdhsa_exception_fp_ieee_underflow 0
		.amdhsa_exception_fp_ieee_inexact 0
		.amdhsa_exception_int_div_zero 0
	.end_amdhsa_kernel
	.section	.text._ZN9rocsparseL26csrgemm_group_reduce_part1ILj256ELj11EilEEvT2_PT1_PS1_j,"axG",@progbits,_ZN9rocsparseL26csrgemm_group_reduce_part1ILj256ELj11EilEEvT2_PT1_PS1_j,comdat
.Lfunc_end16:
	.size	_ZN9rocsparseL26csrgemm_group_reduce_part1ILj256ELj11EilEEvT2_PT1_PS1_j, .Lfunc_end16-_ZN9rocsparseL26csrgemm_group_reduce_part1ILj256ELj11EilEEvT2_PT1_PS1_j
                                        ; -- End function
	.section	.AMDGPU.csdata,"",@progbits
; Kernel info:
; codeLenInByte = 3088
; NumSgprs: 52
; NumVgprs: 34
; NumAgprs: 0
; TotalNumVgprs: 34
; ScratchSize: 0
; MemoryBound: 0
; FloatMode: 240
; IeeeMode: 1
; LDSByteSize: 22528 bytes/workgroup (compile time only)
; SGPRBlocks: 6
; VGPRBlocks: 4
; NumSGPRsForWavesPerEU: 52
; NumVGPRsForWavesPerEU: 34
; AccumOffset: 36
; Occupancy: 2
; WaveLimiterHint : 0
; COMPUTE_PGM_RSRC2:SCRATCH_EN: 0
; COMPUTE_PGM_RSRC2:USER_SGPR: 6
; COMPUTE_PGM_RSRC2:TRAP_HANDLER: 0
; COMPUTE_PGM_RSRC2:TGID_X_EN: 1
; COMPUTE_PGM_RSRC2:TGID_Y_EN: 0
; COMPUTE_PGM_RSRC2:TGID_Z_EN: 0
; COMPUTE_PGM_RSRC2:TIDIG_COMP_CNT: 0
; COMPUTE_PGM_RSRC3_GFX90A:ACCUM_OFFSET: 8
; COMPUTE_PGM_RSRC3_GFX90A:TG_SPLIT: 0
	.section	.text._ZN9rocsparseL26csrgemm_group_reduce_part3ILj256ELj11ElEEvPT1_,"axG",@progbits,_ZN9rocsparseL26csrgemm_group_reduce_part3ILj256ELj11ElEEvPT1_,comdat
	.globl	_ZN9rocsparseL26csrgemm_group_reduce_part3ILj256ELj11ElEEvPT1_ ; -- Begin function _ZN9rocsparseL26csrgemm_group_reduce_part3ILj256ELj11ElEEvPT1_
	.p2align	8
	.type	_ZN9rocsparseL26csrgemm_group_reduce_part3ILj256ELj11ElEEvPT1_,@function
_ZN9rocsparseL26csrgemm_group_reduce_part3ILj256ELj11ElEEvPT1_: ; @_ZN9rocsparseL26csrgemm_group_reduce_part3ILj256ELj11ElEEvPT1_
; %bb.0:
	s_load_dwordx2 s[0:1], s[4:5], 0x0
	v_lshlrev_b32_e32 v4, 3, v0
	v_or_b32_e32 v1, 0xffffff00, v0
	s_mov_b64 s[2:3], 0
	s_movk_i32 s4, 0x9ff
	s_waitcnt lgkmcnt(0)
	v_mov_b32_e32 v3, s1
	v_add_co_u32_e32 v2, vcc, s0, v4
	v_addc_co_u32_e32 v3, vcc, 0, v3, vcc
.LBB17_1:                               ; =>This Inner Loop Header: Depth=1
	global_load_dwordx2 v[6:7], v[2:3], off
	v_add_co_u32_e32 v2, vcc, 0x800, v2
	v_add_u32_e32 v1, 0x100, v1
	v_addc_co_u32_e32 v3, vcc, 0, v3, vcc
	v_cmp_lt_u32_e32 vcc, s4, v1
	s_or_b64 s[2:3], vcc, s[2:3]
	s_waitcnt vmcnt(0)
	ds_write_b64 v4, v[6:7]
	v_add_u32_e32 v4, 0x800, v4
	s_andn2_b64 exec, exec, s[2:3]
	s_cbranch_execnz .LBB17_1
; %bb.2:
	s_or_b64 exec, exec, s[2:3]
	s_movk_i32 s2, 0x80
	v_cmp_gt_u32_e32 vcc, s2, v0
	s_waitcnt lgkmcnt(0)
	s_barrier
	s_barrier
	;; [unrolled: 1-line block ×3, first 2 shown]
	s_and_saveexec_b64 s[2:3], vcc
	s_cbranch_execz .LBB17_4
; %bb.3:
	s_movk_i32 s4, 0x58
	v_mov_b32_e32 v2, 0x2c00
	v_mad_u32_u24 v2, v0, s4, v2
	v_mul_u32_u24_e32 v1, 0x58, v0
	ds_read2_b64 v[2:5], v2 offset1:1
	ds_read2_b64 v[6:9], v1 offset1:1
	ds_read2_b64 v[10:13], v1 offset0:2 offset1:3
	ds_read2_b64 v[14:17], v1 offset0:8 offset1:9
	;; [unrolled: 1-line block ×3, first 2 shown]
	s_waitcnt lgkmcnt(3)
	v_add_co_u32_e32 v2, vcc, v6, v2
	v_addc_co_u32_e32 v3, vcc, v7, v3, vcc
	v_add_co_u32_e32 v4, vcc, v8, v4
	v_addc_co_u32_e32 v5, vcc, v9, v5, vcc
	ds_write2_b64 v1, v[2:3], v[4:5] offset1:1
	v_mov_b32_e32 v2, 0x2c10
	v_mad_u32_u24 v2, v0, s4, v2
	ds_read2_b64 v[2:5], v2 offset1:1
	v_mov_b32_e32 v6, 0x2c20
	v_mad_u32_u24 v6, v0, s4, v6
	ds_read2_b64 v[6:9], v6 offset1:1
	s_waitcnt lgkmcnt(1)
	v_add_co_u32_e32 v2, vcc, v10, v2
	v_addc_co_u32_e32 v3, vcc, v11, v3, vcc
	v_add_co_u32_e32 v4, vcc, v12, v4
	v_addc_co_u32_e32 v5, vcc, v13, v5, vcc
	ds_write2_b64 v1, v[2:3], v[4:5] offset0:2 offset1:3
	ds_read2_b64 v[2:5], v1 offset0:6 offset1:7
	s_waitcnt lgkmcnt(2)
	v_add_co_u32_e32 v6, vcc, v18, v6
	v_addc_co_u32_e32 v7, vcc, v19, v7, vcc
	v_add_co_u32_e32 v8, vcc, v20, v8
	v_addc_co_u32_e32 v9, vcc, v21, v9, vcc
	ds_write2_b64 v1, v[6:7], v[8:9] offset0:4 offset1:5
	v_mov_b32_e32 v6, 0x2c30
	v_mad_u32_u24 v6, v0, s4, v6
	ds_read2_b64 v[6:9], v6 offset1:1
	v_mov_b32_e32 v10, 0x2c40
	v_mad_u32_u24 v10, v0, s4, v10
	ds_read2_b64 v[10:13], v10 offset1:1
	s_waitcnt lgkmcnt(1)
	v_add_co_u32_e32 v2, vcc, v2, v6
	v_addc_co_u32_e32 v3, vcc, v3, v7, vcc
	v_add_co_u32_e32 v4, vcc, v4, v8
	v_addc_co_u32_e32 v5, vcc, v5, v9, vcc
	ds_write2_b64 v1, v[2:3], v[4:5] offset0:6 offset1:7
	v_add_u32_e32 v2, 0x50, v1
	ds_read2st64_b64 v[2:5], v2 offset1:22
	s_waitcnt lgkmcnt(2)
	v_add_co_u32_e32 v6, vcc, v14, v10
	v_addc_co_u32_e32 v7, vcc, v15, v11, vcc
	v_add_co_u32_e32 v8, vcc, v16, v12
	v_addc_co_u32_e32 v9, vcc, v17, v13, vcc
	s_waitcnt lgkmcnt(0)
	v_add_co_u32_e32 v2, vcc, v2, v4
	v_addc_co_u32_e32 v3, vcc, v3, v5, vcc
	ds_write2_b64 v1, v[6:7], v[8:9] offset0:8 offset1:9
	ds_write_b64 v1, v[2:3] offset:80
.LBB17_4:
	s_or_b64 exec, exec, s[2:3]
	v_cmp_gt_u32_e32 vcc, 64, v0
	s_waitcnt lgkmcnt(0)
	s_barrier
	s_and_saveexec_b64 s[2:3], vcc
	s_cbranch_execz .LBB17_6
; %bb.5:
	s_movk_i32 s4, 0x58
	v_mov_b32_e32 v2, 0x1600
	v_mad_u32_u24 v2, v0, s4, v2
	v_mul_u32_u24_e32 v1, 0x58, v0
	ds_read2_b64 v[2:5], v2 offset1:1
	ds_read2_b64 v[6:9], v1 offset1:1
	ds_read2_b64 v[10:13], v1 offset0:2 offset1:3
	ds_read2_b64 v[14:17], v1 offset0:8 offset1:9
	;; [unrolled: 1-line block ×3, first 2 shown]
	s_waitcnt lgkmcnt(3)
	v_add_co_u32_e32 v2, vcc, v6, v2
	v_addc_co_u32_e32 v3, vcc, v7, v3, vcc
	v_add_co_u32_e32 v4, vcc, v8, v4
	v_addc_co_u32_e32 v5, vcc, v9, v5, vcc
	ds_write2_b64 v1, v[2:3], v[4:5] offset1:1
	v_mov_b32_e32 v2, 0x1610
	v_mad_u32_u24 v2, v0, s4, v2
	ds_read2_b64 v[2:5], v2 offset1:1
	v_mov_b32_e32 v6, 0x1620
	v_mad_u32_u24 v6, v0, s4, v6
	ds_read2_b64 v[6:9], v6 offset1:1
	s_waitcnt lgkmcnt(1)
	v_add_co_u32_e32 v2, vcc, v10, v2
	v_addc_co_u32_e32 v3, vcc, v11, v3, vcc
	v_add_co_u32_e32 v4, vcc, v12, v4
	v_addc_co_u32_e32 v5, vcc, v13, v5, vcc
	ds_write2_b64 v1, v[2:3], v[4:5] offset0:2 offset1:3
	ds_read2_b64 v[2:5], v1 offset0:6 offset1:7
	s_waitcnt lgkmcnt(2)
	v_add_co_u32_e32 v6, vcc, v18, v6
	v_addc_co_u32_e32 v7, vcc, v19, v7, vcc
	v_add_co_u32_e32 v8, vcc, v20, v8
	v_addc_co_u32_e32 v9, vcc, v21, v9, vcc
	ds_write2_b64 v1, v[6:7], v[8:9] offset0:4 offset1:5
	v_mov_b32_e32 v6, 0x1630
	v_mad_u32_u24 v6, v0, s4, v6
	ds_read2_b64 v[6:9], v6 offset1:1
	v_mov_b32_e32 v10, 0x1640
	v_mad_u32_u24 v10, v0, s4, v10
	ds_read2_b64 v[10:13], v10 offset1:1
	s_waitcnt lgkmcnt(1)
	v_add_co_u32_e32 v2, vcc, v2, v6
	v_addc_co_u32_e32 v3, vcc, v3, v7, vcc
	v_add_co_u32_e32 v4, vcc, v4, v8
	v_addc_co_u32_e32 v5, vcc, v5, v9, vcc
	ds_write2_b64 v1, v[2:3], v[4:5] offset0:6 offset1:7
	v_add_u32_e32 v2, 0x50, v1
	ds_read2st64_b64 v[2:5], v2 offset1:11
	s_waitcnt lgkmcnt(2)
	v_add_co_u32_e32 v6, vcc, v14, v10
	v_addc_co_u32_e32 v7, vcc, v15, v11, vcc
	v_add_co_u32_e32 v8, vcc, v16, v12
	v_addc_co_u32_e32 v9, vcc, v17, v13, vcc
	s_waitcnt lgkmcnt(0)
	v_add_co_u32_e32 v2, vcc, v2, v4
	v_addc_co_u32_e32 v3, vcc, v3, v5, vcc
	ds_write2_b64 v1, v[6:7], v[8:9] offset0:8 offset1:9
	ds_write_b64 v1, v[2:3] offset:80
.LBB17_6:
	s_or_b64 exec, exec, s[2:3]
	v_cmp_gt_u32_e32 vcc, 32, v0
	s_waitcnt lgkmcnt(0)
	s_barrier
	s_and_saveexec_b64 s[2:3], vcc
	s_cbranch_execz .LBB17_8
; %bb.7:
	s_movk_i32 s4, 0x58
	v_mov_b32_e32 v2, 0xb00
	v_mad_u32_u24 v2, v0, s4, v2
	v_mul_u32_u24_e32 v1, 0x58, v0
	ds_read2_b64 v[2:5], v2 offset1:1
	ds_read2_b64 v[6:9], v1 offset1:1
	ds_read2_b64 v[10:13], v1 offset0:2 offset1:3
	ds_read_b64 v[18:19], v1 offset:2896
	ds_read2_b64 v[14:17], v1 offset0:4 offset1:5
	s_waitcnt lgkmcnt(3)
	v_add_co_u32_e32 v2, vcc, v6, v2
	v_addc_co_u32_e32 v3, vcc, v7, v3, vcc
	v_add_co_u32_e32 v4, vcc, v8, v4
	v_addc_co_u32_e32 v5, vcc, v9, v5, vcc
	ds_write2_b64 v1, v[2:3], v[4:5] offset1:1
	v_mov_b32_e32 v2, 0xb10
	v_mad_u32_u24 v2, v0, s4, v2
	ds_read2_b64 v[2:5], v2 offset1:1
	v_mov_b32_e32 v6, 0xb20
	v_mad_u32_u24 v6, v0, s4, v6
	ds_read2_b64 v[6:9], v6 offset1:1
	s_waitcnt lgkmcnt(1)
	v_add_co_u32_e32 v2, vcc, v10, v2
	v_addc_co_u32_e32 v3, vcc, v11, v3, vcc
	v_add_co_u32_e32 v4, vcc, v12, v4
	v_addc_co_u32_e32 v5, vcc, v13, v5, vcc
	ds_write2_b64 v1, v[2:3], v[4:5] offset0:2 offset1:3
	ds_read2_b64 v[2:5], v1 offset0:6 offset1:7
	s_waitcnt lgkmcnt(2)
	v_add_co_u32_e32 v6, vcc, v14, v6
	v_addc_co_u32_e32 v7, vcc, v15, v7, vcc
	v_add_co_u32_e32 v8, vcc, v16, v8
	v_addc_co_u32_e32 v9, vcc, v17, v9, vcc
	ds_write2_b64 v1, v[6:7], v[8:9] offset0:4 offset1:5
	v_mov_b32_e32 v6, 0xb30
	v_mad_u32_u24 v6, v0, s4, v6
	ds_read2_b64 v[6:9], v6 offset1:1
	v_mov_b32_e32 v10, 0xb40
	v_mad_u32_u24 v10, v0, s4, v10
	ds_read2_b64 v[10:13], v10 offset1:1
	ds_read2_b64 v[14:17], v1 offset0:8 offset1:9
	s_waitcnt lgkmcnt(2)
	v_add_co_u32_e32 v2, vcc, v2, v6
	v_addc_co_u32_e32 v3, vcc, v3, v7, vcc
	v_add_co_u32_e32 v4, vcc, v4, v8
	v_addc_co_u32_e32 v5, vcc, v5, v9, vcc
	ds_write2_b64 v1, v[2:3], v[4:5] offset0:6 offset1:7
	ds_read_b64 v[2:3], v1 offset:80
	s_waitcnt lgkmcnt(2)
	v_add_co_u32_e32 v4, vcc, v14, v10
	v_addc_co_u32_e32 v5, vcc, v15, v11, vcc
	v_add_co_u32_e32 v6, vcc, v16, v12
	v_addc_co_u32_e32 v7, vcc, v17, v13, vcc
	s_waitcnt lgkmcnt(0)
	v_add_co_u32_e32 v2, vcc, v2, v18
	v_addc_co_u32_e32 v3, vcc, v3, v19, vcc
	ds_write2_b64 v1, v[4:5], v[6:7] offset0:8 offset1:9
	ds_write_b64 v1, v[2:3] offset:80
.LBB17_8:
	s_or_b64 exec, exec, s[2:3]
	v_cmp_gt_u32_e32 vcc, 16, v0
	s_waitcnt lgkmcnt(0)
	s_barrier
	s_and_saveexec_b64 s[2:3], vcc
	s_cbranch_execz .LBB17_10
; %bb.9:
	v_mul_u32_u24_e32 v1, 0x58, v0
	ds_read2_b64 v[2:5], v1 offset0:176 offset1:177
	ds_read2_b64 v[6:9], v1 offset1:1
	ds_read2_b64 v[10:13], v1 offset0:2 offset1:3
	ds_read2_b64 v[14:17], v1 offset0:8 offset1:9
	ds_read2_b64 v[18:21], v1 offset0:178 offset1:179
	s_waitcnt lgkmcnt(3)
	v_add_co_u32_e32 v2, vcc, v6, v2
	v_addc_co_u32_e32 v3, vcc, v7, v3, vcc
	v_add_co_u32_e32 v4, vcc, v8, v4
	v_addc_co_u32_e32 v5, vcc, v9, v5, vcc
	ds_write2_b64 v1, v[2:3], v[4:5] offset1:1
	ds_read2_b64 v[2:5], v1 offset0:180 offset1:181
	s_waitcnt lgkmcnt(2)
	v_add_co_u32_e32 v10, vcc, v10, v18
	ds_read2_b64 v[6:9], v1 offset0:4 offset1:5
	v_addc_co_u32_e32 v11, vcc, v11, v19, vcc
	v_add_co_u32_e32 v12, vcc, v12, v20
	v_addc_co_u32_e32 v13, vcc, v13, v21, vcc
	ds_write2_b64 v1, v[10:11], v[12:13] offset0:2 offset1:3
	ds_read2_b64 v[10:13], v1 offset0:6 offset1:7
	ds_read2_b64 v[18:21], v1 offset0:182 offset1:183
	s_waitcnt lgkmcnt(3)
	v_add_co_u32_e32 v2, vcc, v6, v2
	v_addc_co_u32_e32 v3, vcc, v7, v3, vcc
	v_add_co_u32_e32 v4, vcc, v8, v4
	v_addc_co_u32_e32 v5, vcc, v9, v5, vcc
	ds_write2_b64 v1, v[2:3], v[4:5] offset0:4 offset1:5
	ds_read2_b64 v[2:5], v1 offset0:184 offset1:185
	s_waitcnt lgkmcnt(2)
	v_add_co_u32_e32 v6, vcc, v10, v18
	v_addc_co_u32_e32 v7, vcc, v11, v19, vcc
	v_add_co_u32_e32 v8, vcc, v12, v20
	v_addc_co_u32_e32 v9, vcc, v13, v21, vcc
	ds_write2_b64 v1, v[6:7], v[8:9] offset0:6 offset1:7
	ds_read2_b64 v[6:9], v1 offset0:10 offset1:186
	s_waitcnt lgkmcnt(2)
	v_add_co_u32_e32 v2, vcc, v14, v2
	v_addc_co_u32_e32 v3, vcc, v15, v3, vcc
	v_add_co_u32_e32 v4, vcc, v16, v4
	v_addc_co_u32_e32 v5, vcc, v17, v5, vcc
	ds_write2_b64 v1, v[2:3], v[4:5] offset0:8 offset1:9
	s_waitcnt lgkmcnt(1)
	v_add_co_u32_e32 v2, vcc, v6, v8
	v_addc_co_u32_e32 v3, vcc, v7, v9, vcc
	ds_write_b64 v1, v[2:3] offset:80
.LBB17_10:
	s_or_b64 exec, exec, s[2:3]
	v_cmp_gt_u32_e32 vcc, 8, v0
	s_waitcnt lgkmcnt(0)
	s_barrier
	s_and_saveexec_b64 s[2:3], vcc
	s_cbranch_execz .LBB17_12
; %bb.11:
	v_mul_u32_u24_e32 v1, 0x58, v0
	ds_read2_b64 v[2:5], v1 offset0:88 offset1:89
	ds_read2_b64 v[6:9], v1 offset1:1
	ds_read2_b64 v[10:13], v1 offset0:2 offset1:3
	ds_read2_b64 v[14:17], v1 offset0:8 offset1:9
	ds_read2_b64 v[18:21], v1 offset0:90 offset1:91
	s_waitcnt lgkmcnt(3)
	v_add_co_u32_e32 v2, vcc, v6, v2
	v_addc_co_u32_e32 v3, vcc, v7, v3, vcc
	v_add_co_u32_e32 v4, vcc, v8, v4
	v_addc_co_u32_e32 v5, vcc, v9, v5, vcc
	ds_write2_b64 v1, v[2:3], v[4:5] offset1:1
	ds_read2_b64 v[2:5], v1 offset0:92 offset1:93
	s_waitcnt lgkmcnt(2)
	v_add_co_u32_e32 v10, vcc, v10, v18
	ds_read2_b64 v[6:9], v1 offset0:4 offset1:5
	v_addc_co_u32_e32 v11, vcc, v11, v19, vcc
	v_add_co_u32_e32 v12, vcc, v12, v20
	v_addc_co_u32_e32 v13, vcc, v13, v21, vcc
	ds_write2_b64 v1, v[10:11], v[12:13] offset0:2 offset1:3
	ds_read2_b64 v[10:13], v1 offset0:6 offset1:7
	ds_read2_b64 v[18:21], v1 offset0:94 offset1:95
	s_waitcnt lgkmcnt(3)
	v_add_co_u32_e32 v2, vcc, v6, v2
	v_addc_co_u32_e32 v3, vcc, v7, v3, vcc
	v_add_co_u32_e32 v4, vcc, v8, v4
	v_addc_co_u32_e32 v5, vcc, v9, v5, vcc
	ds_write2_b64 v1, v[2:3], v[4:5] offset0:4 offset1:5
	ds_read2_b64 v[2:5], v1 offset0:96 offset1:97
	s_waitcnt lgkmcnt(2)
	v_add_co_u32_e32 v6, vcc, v10, v18
	v_addc_co_u32_e32 v7, vcc, v11, v19, vcc
	v_add_co_u32_e32 v8, vcc, v12, v20
	v_addc_co_u32_e32 v9, vcc, v13, v21, vcc
	ds_write2_b64 v1, v[6:7], v[8:9] offset0:6 offset1:7
	ds_read2_b64 v[6:9], v1 offset0:10 offset1:98
	s_waitcnt lgkmcnt(2)
	v_add_co_u32_e32 v2, vcc, v14, v2
	v_addc_co_u32_e32 v3, vcc, v15, v3, vcc
	v_add_co_u32_e32 v4, vcc, v16, v4
	v_addc_co_u32_e32 v5, vcc, v17, v5, vcc
	ds_write2_b64 v1, v[2:3], v[4:5] offset0:8 offset1:9
	s_waitcnt lgkmcnt(1)
	v_add_co_u32_e32 v2, vcc, v6, v8
	v_addc_co_u32_e32 v3, vcc, v7, v9, vcc
	ds_write_b64 v1, v[2:3] offset:80
.LBB17_12:
	s_or_b64 exec, exec, s[2:3]
	v_cmp_gt_u32_e32 vcc, 4, v0
	s_waitcnt lgkmcnt(0)
	s_barrier
	s_and_saveexec_b64 s[2:3], vcc
	s_cbranch_execz .LBB17_14
; %bb.13:
	v_mul_u32_u24_e32 v1, 0x58, v0
	ds_read2_b64 v[2:5], v1 offset0:44 offset1:45
	ds_read2_b64 v[6:9], v1 offset1:1
	ds_read2_b64 v[10:13], v1 offset0:2 offset1:3
	ds_read2_b64 v[14:17], v1 offset0:8 offset1:9
	ds_read2_b64 v[18:21], v1 offset0:46 offset1:47
	s_waitcnt lgkmcnt(3)
	v_add_co_u32_e32 v2, vcc, v6, v2
	v_addc_co_u32_e32 v3, vcc, v7, v3, vcc
	v_add_co_u32_e32 v4, vcc, v8, v4
	v_addc_co_u32_e32 v5, vcc, v9, v5, vcc
	ds_write2_b64 v1, v[2:3], v[4:5] offset1:1
	ds_read2_b64 v[2:5], v1 offset0:48 offset1:49
	s_waitcnt lgkmcnt(2)
	v_add_co_u32_e32 v10, vcc, v10, v18
	ds_read2_b64 v[6:9], v1 offset0:4 offset1:5
	v_addc_co_u32_e32 v11, vcc, v11, v19, vcc
	v_add_co_u32_e32 v12, vcc, v12, v20
	v_addc_co_u32_e32 v13, vcc, v13, v21, vcc
	ds_write2_b64 v1, v[10:11], v[12:13] offset0:2 offset1:3
	ds_read2_b64 v[10:13], v1 offset0:6 offset1:7
	ds_read2_b64 v[18:21], v1 offset0:50 offset1:51
	s_waitcnt lgkmcnt(3)
	v_add_co_u32_e32 v2, vcc, v6, v2
	v_addc_co_u32_e32 v3, vcc, v7, v3, vcc
	v_add_co_u32_e32 v4, vcc, v8, v4
	v_addc_co_u32_e32 v5, vcc, v9, v5, vcc
	ds_write2_b64 v1, v[2:3], v[4:5] offset0:4 offset1:5
	ds_read2_b64 v[2:5], v1 offset0:52 offset1:53
	s_waitcnt lgkmcnt(2)
	v_add_co_u32_e32 v6, vcc, v10, v18
	v_addc_co_u32_e32 v7, vcc, v11, v19, vcc
	v_add_co_u32_e32 v8, vcc, v12, v20
	v_addc_co_u32_e32 v9, vcc, v13, v21, vcc
	ds_write2_b64 v1, v[6:7], v[8:9] offset0:6 offset1:7
	ds_read2_b64 v[6:9], v1 offset0:10 offset1:54
	s_waitcnt lgkmcnt(2)
	v_add_co_u32_e32 v2, vcc, v14, v2
	v_addc_co_u32_e32 v3, vcc, v15, v3, vcc
	v_add_co_u32_e32 v4, vcc, v16, v4
	v_addc_co_u32_e32 v5, vcc, v17, v5, vcc
	ds_write2_b64 v1, v[2:3], v[4:5] offset0:8 offset1:9
	s_waitcnt lgkmcnt(1)
	v_add_co_u32_e32 v2, vcc, v6, v8
	v_addc_co_u32_e32 v3, vcc, v7, v9, vcc
	ds_write_b64 v1, v[2:3] offset:80
.LBB17_14:
	s_or_b64 exec, exec, s[2:3]
	v_cmp_gt_u32_e32 vcc, 2, v0
	s_waitcnt lgkmcnt(0)
	s_barrier
	s_and_saveexec_b64 s[2:3], vcc
	s_cbranch_execz .LBB17_16
; %bb.15:
	v_mul_u32_u24_e32 v1, 11, v0
	v_lshlrev_b32_e32 v1, 3, v1
	ds_read2_b64 v[2:5], v1 offset0:22 offset1:23
	ds_read2_b64 v[6:9], v1 offset1:1
	ds_read2_b64 v[10:13], v1 offset0:2 offset1:3
	ds_read2_b64 v[14:17], v1 offset0:8 offset1:9
	ds_read2_b64 v[18:21], v1 offset0:24 offset1:25
	s_waitcnt lgkmcnt(3)
	v_add_co_u32_e32 v2, vcc, v6, v2
	v_addc_co_u32_e32 v3, vcc, v7, v3, vcc
	v_add_co_u32_e32 v4, vcc, v8, v4
	v_addc_co_u32_e32 v5, vcc, v9, v5, vcc
	ds_write2_b64 v1, v[2:3], v[4:5] offset1:1
	ds_read2_b64 v[2:5], v1 offset0:26 offset1:27
	s_waitcnt lgkmcnt(2)
	v_add_co_u32_e32 v10, vcc, v10, v18
	ds_read2_b64 v[6:9], v1 offset0:4 offset1:5
	v_addc_co_u32_e32 v11, vcc, v11, v19, vcc
	v_add_co_u32_e32 v12, vcc, v12, v20
	v_addc_co_u32_e32 v13, vcc, v13, v21, vcc
	ds_write2_b64 v1, v[10:11], v[12:13] offset0:2 offset1:3
	ds_read2_b64 v[10:13], v1 offset0:6 offset1:7
	ds_read2_b64 v[18:21], v1 offset0:28 offset1:29
	s_waitcnt lgkmcnt(3)
	v_add_co_u32_e32 v2, vcc, v6, v2
	v_addc_co_u32_e32 v3, vcc, v7, v3, vcc
	v_add_co_u32_e32 v4, vcc, v8, v4
	v_addc_co_u32_e32 v5, vcc, v9, v5, vcc
	ds_write2_b64 v1, v[2:3], v[4:5] offset0:4 offset1:5
	ds_read2_b64 v[2:5], v1 offset0:30 offset1:31
	s_waitcnt lgkmcnt(2)
	v_add_co_u32_e32 v6, vcc, v10, v18
	v_addc_co_u32_e32 v7, vcc, v11, v19, vcc
	v_add_co_u32_e32 v8, vcc, v12, v20
	v_addc_co_u32_e32 v9, vcc, v13, v21, vcc
	ds_write2_b64 v1, v[6:7], v[8:9] offset0:6 offset1:7
	;; [unrolled: 7-line block ×3, first 2 shown]
	s_waitcnt lgkmcnt(1)
	v_add_co_u32_e32 v2, vcc, v6, v8
	v_addc_co_u32_e32 v3, vcc, v7, v9, vcc
	ds_write_b64 v1, v[2:3] offset:80
.LBB17_16:
	s_or_b64 exec, exec, s[2:3]
	v_cmp_eq_u32_e32 vcc, 0, v0
	s_waitcnt lgkmcnt(0)
	s_barrier
	s_and_saveexec_b64 s[2:3], vcc
	s_cbranch_execz .LBB17_18
; %bb.17:
	v_mov_b32_e32 v1, 0
	ds_read_b128 v[2:5], v1 offset:80
	ds_read_b128 v[6:9], v1
	ds_read_b128 v[10:13], v1 offset:16
	ds_read_b128 v[14:17], v1 offset:32
	;; [unrolled: 1-line block ×5, first 2 shown]
	s_waitcnt lgkmcnt(5)
	v_add_co_u32_e32 v4, vcc, v6, v4
	v_addc_co_u32_e32 v5, vcc, v7, v5, vcc
	ds_read_b128 v[30:33], v1 offset:112
	s_waitcnt lgkmcnt(2)
	v_add_co_u32_e32 v6, vcc, v8, v22
	v_addc_co_u32_e32 v7, vcc, v9, v23, vcc
	ds_write_b128 v1, v[4:7]
	v_add_co_u32_e32 v4, vcc, v10, v24
	v_addc_co_u32_e32 v5, vcc, v11, v25, vcc
	s_waitcnt lgkmcnt(1)
	v_add_co_u32_e32 v6, vcc, v12, v30
	v_addc_co_u32_e32 v7, vcc, v13, v31, vcc
	ds_write_b128 v1, v[4:7] offset:16
	ds_read_b128 v[4:7], v1 offset:128
	v_add_co_u32_e32 v8, vcc, v14, v32
	v_addc_co_u32_e32 v9, vcc, v15, v33, vcc
	ds_read_b128 v[12:15], v1 offset:144
	s_waitcnt lgkmcnt(1)
	v_add_co_u32_e32 v10, vcc, v16, v4
	v_addc_co_u32_e32 v11, vcc, v17, v5, vcc
	v_add_co_u32_e32 v4, vcc, v18, v6
	v_addc_co_u32_e32 v5, vcc, v19, v7, vcc
	s_waitcnt lgkmcnt(0)
	v_add_co_u32_e32 v6, vcc, v20, v12
	v_addc_co_u32_e32 v7, vcc, v21, v13, vcc
	ds_write_b128 v1, v[4:7] offset:48
	ds_read_b128 v[4:7], v1 offset:160
	ds_write_b128 v1, v[8:11] offset:32
	v_add_co_u32_e32 v8, vcc, v26, v14
	v_addc_co_u32_e32 v9, vcc, v27, v15, vcc
	s_waitcnt lgkmcnt(1)
	v_add_co_u32_e32 v10, vcc, v28, v4
	v_addc_co_u32_e32 v11, vcc, v29, v5, vcc
	v_add_co_u32_e32 v2, vcc, v2, v6
	v_addc_co_u32_e32 v3, vcc, v3, v7, vcc
	ds_write_b128 v1, v[8:11] offset:64
	ds_write_b64 v1, v[2:3] offset:80
.LBB17_18:
	s_or_b64 exec, exec, s[2:3]
	v_cmp_gt_u32_e32 vcc, 11, v0
	s_waitcnt lgkmcnt(0)
	s_barrier
	s_and_saveexec_b64 s[2:3], vcc
	s_cbranch_execz .LBB17_20
; %bb.19:
	v_lshlrev_b32_e32 v2, 3, v0
	ds_read_b64 v[0:1], v2
	s_waitcnt lgkmcnt(0)
	global_store_dwordx2 v2, v[0:1], s[0:1]
.LBB17_20:
	s_endpgm
	.section	.rodata,"a",@progbits
	.p2align	6, 0x0
	.amdhsa_kernel _ZN9rocsparseL26csrgemm_group_reduce_part3ILj256ELj11ElEEvPT1_
		.amdhsa_group_segment_fixed_size 22528
		.amdhsa_private_segment_fixed_size 0
		.amdhsa_kernarg_size 8
		.amdhsa_user_sgpr_count 6
		.amdhsa_user_sgpr_private_segment_buffer 1
		.amdhsa_user_sgpr_dispatch_ptr 0
		.amdhsa_user_sgpr_queue_ptr 0
		.amdhsa_user_sgpr_kernarg_segment_ptr 1
		.amdhsa_user_sgpr_dispatch_id 0
		.amdhsa_user_sgpr_flat_scratch_init 0
		.amdhsa_user_sgpr_kernarg_preload_length 0
		.amdhsa_user_sgpr_kernarg_preload_offset 0
		.amdhsa_user_sgpr_private_segment_size 0
		.amdhsa_uses_dynamic_stack 0
		.amdhsa_system_sgpr_private_segment_wavefront_offset 0
		.amdhsa_system_sgpr_workgroup_id_x 1
		.amdhsa_system_sgpr_workgroup_id_y 0
		.amdhsa_system_sgpr_workgroup_id_z 0
		.amdhsa_system_sgpr_workgroup_info 0
		.amdhsa_system_vgpr_workitem_id 0
		.amdhsa_next_free_vgpr 34
		.amdhsa_next_free_sgpr 6
		.amdhsa_accum_offset 36
		.amdhsa_reserve_vcc 1
		.amdhsa_reserve_flat_scratch 0
		.amdhsa_float_round_mode_32 0
		.amdhsa_float_round_mode_16_64 0
		.amdhsa_float_denorm_mode_32 3
		.amdhsa_float_denorm_mode_16_64 3
		.amdhsa_dx10_clamp 1
		.amdhsa_ieee_mode 1
		.amdhsa_fp16_overflow 0
		.amdhsa_tg_split 0
		.amdhsa_exception_fp_ieee_invalid_op 0
		.amdhsa_exception_fp_denorm_src 0
		.amdhsa_exception_fp_ieee_div_zero 0
		.amdhsa_exception_fp_ieee_overflow 0
		.amdhsa_exception_fp_ieee_underflow 0
		.amdhsa_exception_fp_ieee_inexact 0
		.amdhsa_exception_int_div_zero 0
	.end_amdhsa_kernel
	.section	.text._ZN9rocsparseL26csrgemm_group_reduce_part3ILj256ELj11ElEEvPT1_,"axG",@progbits,_ZN9rocsparseL26csrgemm_group_reduce_part3ILj256ELj11ElEEvPT1_,comdat
.Lfunc_end17:
	.size	_ZN9rocsparseL26csrgemm_group_reduce_part3ILj256ELj11ElEEvPT1_, .Lfunc_end17-_ZN9rocsparseL26csrgemm_group_reduce_part3ILj256ELj11ElEEvPT1_
                                        ; -- End function
	.section	.AMDGPU.csdata,"",@progbits
; Kernel info:
; codeLenInByte = 2684
; NumSgprs: 10
; NumVgprs: 34
; NumAgprs: 0
; TotalNumVgprs: 34
; ScratchSize: 0
; MemoryBound: 1
; FloatMode: 240
; IeeeMode: 1
; LDSByteSize: 22528 bytes/workgroup (compile time only)
; SGPRBlocks: 1
; VGPRBlocks: 4
; NumSGPRsForWavesPerEU: 10
; NumVGPRsForWavesPerEU: 34
; AccumOffset: 36
; Occupancy: 2
; WaveLimiterHint : 1
; COMPUTE_PGM_RSRC2:SCRATCH_EN: 0
; COMPUTE_PGM_RSRC2:USER_SGPR: 6
; COMPUTE_PGM_RSRC2:TRAP_HANDLER: 0
; COMPUTE_PGM_RSRC2:TGID_X_EN: 1
; COMPUTE_PGM_RSRC2:TGID_Y_EN: 0
; COMPUTE_PGM_RSRC2:TGID_Z_EN: 0
; COMPUTE_PGM_RSRC2:TIDIG_COMP_CNT: 0
; COMPUTE_PGM_RSRC3_GFX90A:ACCUM_OFFSET: 8
; COMPUTE_PGM_RSRC3_GFX90A:TG_SPLIT: 0
	.section	.text._ZN9rocsparseL22csrgemm_nnz_wf_per_rowILj128ELj4ELj32ELj79EilEEvT4_PKS1_S3_PKT3_S3_S6_S3_S6_S3_PS4_21rocsparse_index_base_S8_S8_bb,"axG",@progbits,_ZN9rocsparseL22csrgemm_nnz_wf_per_rowILj128ELj4ELj32ELj79EilEEvT4_PKS1_S3_PKT3_S3_S6_S3_S6_S3_PS4_21rocsparse_index_base_S8_S8_bb,comdat
	.globl	_ZN9rocsparseL22csrgemm_nnz_wf_per_rowILj128ELj4ELj32ELj79EilEEvT4_PKS1_S3_PKT3_S3_S6_S3_S6_S3_PS4_21rocsparse_index_base_S8_S8_bb ; -- Begin function _ZN9rocsparseL22csrgemm_nnz_wf_per_rowILj128ELj4ELj32ELj79EilEEvT4_PKS1_S3_PKT3_S3_S6_S3_S6_S3_PS4_21rocsparse_index_base_S8_S8_bb
	.p2align	8
	.type	_ZN9rocsparseL22csrgemm_nnz_wf_per_rowILj128ELj4ELj32ELj79EilEEvT4_PKS1_S3_PKT3_S3_S6_S3_S6_S3_PS4_21rocsparse_index_base_S8_S8_bb,@function
_ZN9rocsparseL22csrgemm_nnz_wf_per_rowILj128ELj4ELj32ELj79EilEEvT4_PKS1_S3_PKT3_S3_S6_S3_S6_S3_PS4_21rocsparse_index_base_S8_S8_bb: ; @_ZN9rocsparseL22csrgemm_nnz_wf_per_rowILj128ELj4ELj32ELj79EilEEvT4_PKS1_S3_PKT3_S3_S6_S3_S6_S3_PS4_21rocsparse_index_base_S8_S8_bb
; %bb.0:
	s_load_dwordx2 s[2:3], s[4:5], 0x48
	s_load_dwordx8 s[16:23], s[4:5], 0x8
	s_load_dwordx8 s[8:15], s[4:5], 0x28
	v_and_b32_e32 v14, 3, v0
	v_lshrrev_b32_e32 v2, 2, v0
	v_lshlrev_b32_e32 v0, 3, v14
	v_lshl_or_b32 v4, v2, 8, v0
	v_mov_b32_e32 v0, -1
	v_or_b32_e32 v3, -4, v14
	s_mov_b64 s[0:1], 0
	v_mov_b32_e32 v1, v0
.LBB18_1:                               ; =>This Inner Loop Header: Depth=1
	v_add_u32_e32 v3, 4, v3
	v_cmp_lt_u32_e32 vcc, 27, v3
	ds_write_b64 v4, v[0:1]
	s_or_b64 s[0:1], vcc, s[0:1]
	v_add_u32_e32 v4, 32, v4
	s_andn2_b64 exec, exec, s[0:1]
	s_cbranch_execnz .LBB18_1
; %bb.2:
	s_or_b64 exec, exec, s[0:1]
	s_load_dwordx2 s[0:1], s[4:5], 0x0
	s_lshl_b32 s6, s6, 5
	s_and_b32 s6, s6, 0x3fffffe0
	v_or_b32_e32 v0, s6, v2
	v_mov_b32_e32 v1, 0
	s_waitcnt lgkmcnt(0)
	v_cmp_gt_i64_e32 vcc, s[0:1], v[0:1]
	s_and_saveexec_b64 s[0:1], vcc
	s_cbranch_execz .LBB18_39
; %bb.3:
	s_cmp_eq_u64 s[18:19], 0
	s_cbranch_scc1 .LBB18_5
; %bb.4:
	s_load_dwordx2 s[0:1], s[16:17], 0x0
	v_lshlrev_b64 v[0:1], 3, v[0:1]
	s_waitcnt lgkmcnt(0)
	s_lshl_b64 s[0:1], s[0:1], 3
	s_add_u32 s0, s18, s0
	s_addc_u32 s1, s19, s1
	v_mov_b32_e32 v3, s1
	v_add_co_u32_e32 v0, vcc, s0, v0
	v_addc_co_u32_e32 v1, vcc, v3, v1, vcc
	global_load_dwordx2 v[0:1], v[0:1], off
.LBB18_5:
	s_load_dwordx4 s[16:19], s[4:5], 0x50
	v_lshlrev_b32_e32 v15, 8, v2
	v_pk_mov_b32 v[2:3], 0, 0
	s_waitcnt vmcnt(0)
	v_lshlrev_b64 v[0:1], 2, v[0:1]
	s_waitcnt lgkmcnt(0)
	s_bitcmp0_b32 s19, 0
	s_cbranch_scc1 .LBB18_23
; %bb.6:
	v_mov_b32_e32 v3, s21
	v_add_co_u32_e32 v2, vcc, s20, v0
	v_addc_co_u32_e32 v3, vcc, v3, v1, vcc
	global_load_dwordx2 v[2:3], v[2:3], off
	v_subrev_u32_e32 v4, s16, v14
	s_waitcnt vmcnt(0)
	v_subrev_u32_e32 v11, s16, v3
	v_add_u32_e32 v4, v4, v2
	v_cmp_lt_i32_e32 vcc, v4, v11
	v_pk_mov_b32 v[2:3], 0, 0
	s_and_saveexec_b64 s[6:7], vcc
	s_cbranch_execz .LBB18_22
; %bb.7:
	s_mov_b32 s0, 0
	s_mov_b32 s19, s17
	;; [unrolled: 1-line block ×3, first 2 shown]
	s_mov_b64 s[20:21], 0
	v_pk_mov_b32 v[2:3], 0, 0
	v_mov_b32_e32 v16, s23
	v_mov_b32_e32 v17, s0
	;; [unrolled: 1-line block ×3, first 2 shown]
	s_branch .LBB18_10
.LBB18_8:                               ;   in Loop: Header=BB18_10 Depth=1
	s_or_b64 exec, exec, s[26:27]
.LBB18_9:                               ;   in Loop: Header=BB18_10 Depth=1
	s_or_b64 exec, exec, s[24:25]
	v_add_u32_e32 v4, 4, v4
	v_cmp_ge_i32_e32 vcc, v4, v11
	s_or_b64 s[20:21], vcc, s[20:21]
	s_andn2_b64 exec, exec, s[20:21]
	s_cbranch_execz .LBB18_21
.LBB18_10:                              ; =>This Loop Header: Depth=1
                                        ;     Child Loop BB18_13 Depth 2
                                        ;       Child Loop BB18_16 Depth 3
	v_ashrrev_i32_e32 v5, 31, v4
	v_lshlrev_b64 v[6:7], 3, v[4:5]
	v_add_co_u32_e32 v6, vcc, s22, v6
	v_addc_co_u32_e32 v7, vcc, v16, v7, vcc
	global_load_dwordx2 v[6:7], v[6:7], off
	s_waitcnt vmcnt(0)
	v_subrev_co_u32_e32 v6, vcc, s16, v6
	v_subb_co_u32_e32 v7, vcc, v7, v17, vcc
	v_lshlrev_b64 v[6:7], 2, v[6:7]
	v_add_co_u32_e32 v6, vcc, s8, v6
	v_addc_co_u32_e32 v7, vcc, v18, v7, vcc
	global_load_dwordx2 v[6:7], v[6:7], off
	s_waitcnt vmcnt(0)
	v_cmp_lt_i32_e32 vcc, v6, v7
	s_and_saveexec_b64 s[24:25], vcc
	s_cbranch_execz .LBB18_9
; %bb.11:                               ;   in Loop: Header=BB18_10 Depth=1
	v_subrev_u32_e32 v5, s17, v7
	v_subrev_u32_e32 v6, s17, v6
	s_mov_b64 s[26:27], 0
	s_branch .LBB18_13
.LBB18_12:                              ;   in Loop: Header=BB18_13 Depth=2
	s_or_b64 exec, exec, s[36:37]
	v_add_u32_e32 v6, 1, v6
	v_cndmask_b32_e64 v7, 0, 1, s[28:29]
	v_cmp_ge_i32_e32 vcc, v6, v5
	s_or_b64 s[26:27], vcc, s[26:27]
	v_add_co_u32_e32 v2, vcc, v2, v7
	v_addc_co_u32_e32 v3, vcc, 0, v3, vcc
	s_andn2_b64 exec, exec, s[26:27]
	s_cbranch_execz .LBB18_8
.LBB18_13:                              ;   Parent Loop BB18_10 Depth=1
                                        ; =>  This Loop Header: Depth=2
                                        ;       Child Loop BB18_16 Depth 3
	v_ashrrev_i32_e32 v7, 31, v6
	v_lshlrev_b64 v[8:9], 3, v[6:7]
	v_mov_b32_e32 v7, s11
	v_add_co_u32_e32 v8, vcc, s10, v8
	v_addc_co_u32_e32 v9, vcc, v7, v9, vcc
	global_load_dwordx2 v[8:9], v[8:9], off
	v_mov_b32_e32 v7, s33
	s_mov_b64 s[36:37], 0
                                        ; implicit-def: $sgpr28_sgpr29
                                        ; implicit-def: $sgpr30_sgpr31
                                        ; implicit-def: $sgpr34_sgpr35
                                        ; implicit-def: $sgpr38_sgpr39
	s_waitcnt vmcnt(0)
	v_subrev_co_u32_e32 v8, vcc, s19, v8
	v_subb_co_u32_e32 v9, vcc, v9, v7, vcc
	v_mul_lo_u32 v7, v8, 15
	v_and_b32_e32 v10, 31, v7
	s_branch .LBB18_16
.LBB18_14:                              ;   in Loop: Header=BB18_16 Depth=3
	s_or_b64 exec, exec, s[44:45]
	s_andn2_b64 s[34:35], s[34:35], exec
	s_and_b64 s[38:39], s[42:43], exec
	s_andn2_b64 s[30:31], s[30:31], exec
	s_and_b64 s[0:1], s[0:1], exec
	s_or_b64 s[34:35], s[34:35], s[38:39]
	s_or_b64 s[30:31], s[30:31], s[0:1]
                                        ; implicit-def: $sgpr38_sgpr39
.LBB18_15:                              ;   in Loop: Header=BB18_16 Depth=3
	s_or_b64 exec, exec, s[40:41]
	s_xor_b64 s[0:1], s[30:31], -1
	s_and_b64 s[0:1], exec, s[0:1]
	s_or_b64 s[36:37], s[0:1], s[36:37]
	s_andn2_b64 s[0:1], s[38:39], exec
	s_and_b64 s[40:41], s[34:35], exec
	s_or_b64 s[38:39], s[0:1], s[40:41]
	s_andn2_b64 s[0:1], s[28:29], exec
	s_or_b64 s[28:29], s[0:1], s[40:41]
	s_andn2_b64 exec, exec, s[36:37]
	s_cbranch_execz .LBB18_12
.LBB18_16:                              ;   Parent Loop BB18_10 Depth=1
                                        ;     Parent Loop BB18_13 Depth=2
                                        ; =>    This Inner Loop Header: Depth=3
	v_lshl_add_u32 v7, v10, 3, v15
	ds_read_b64 v[12:13], v7
	s_andn2_b64 s[34:35], s[34:35], exec
	s_andn2_b64 s[30:31], s[30:31], exec
	s_waitcnt lgkmcnt(0)
	v_cmp_ne_u64_e32 vcc, v[12:13], v[8:9]
	s_and_saveexec_b64 s[40:41], vcc
	s_cbranch_execz .LBB18_15
; %bb.17:                               ;   in Loop: Header=BB18_16 Depth=3
	v_cmp_ne_u64_e32 vcc, -1, v[12:13]
                                        ; implicit-def: $sgpr42_sgpr43
                                        ; implicit-def: $sgpr0_sgpr1
	s_and_saveexec_b64 s[44:45], vcc
	s_xor_b64 s[44:45], exec, s[44:45]
; %bb.18:                               ;   in Loop: Header=BB18_16 Depth=3
	v_add_u32_e32 v7, 1, v10
	v_and_b32_e32 v10, 31, v7
	s_mov_b64 s[0:1], -1
	s_and_b64 s[42:43], s[38:39], exec
                                        ; implicit-def: $vgpr7
; %bb.19:                               ;   in Loop: Header=BB18_16 Depth=3
	s_andn2_saveexec_b64 s[44:45], s[44:45]
	s_cbranch_execz .LBB18_14
; %bb.20:                               ;   in Loop: Header=BB18_16 Depth=3
	v_pk_mov_b32 v[12:13], -1, -1
	ds_cmpst_rtn_b64 v[12:13], v7, v[12:13], v[8:9]
	s_andn2_b64 s[46:47], s[0:1], exec
	s_andn2_b64 s[42:43], s[42:43], exec
	s_waitcnt lgkmcnt(0)
	v_cmp_eq_u64_e64 s[0:1], -1, v[12:13]
	v_cmp_ne_u64_e32 vcc, -1, v[12:13]
	s_or_b64 s[38:39], s[0:1], s[38:39]
	s_and_b64 s[0:1], vcc, exec
	s_and_b64 s[38:39], s[38:39], exec
	s_or_b64 s[0:1], s[46:47], s[0:1]
	s_or_b64 s[42:43], s[42:43], s[38:39]
	s_branch .LBB18_14
.LBB18_21:
	s_or_b64 exec, exec, s[20:21]
.LBB18_22:
	s_or_b64 exec, exec, s[6:7]
.LBB18_23:
	s_load_dword s0, s[4:5], 0x5c
	s_waitcnt lgkmcnt(0)
	s_bfe_u32 s0, s0, 0x10008
	s_cmp_eq_u32 s0, 0
	s_cbranch_scc1 .LBB18_37
; %bb.24:
	v_mov_b32_e32 v5, s13
	v_add_co_u32_e32 v4, vcc, s12, v0
	v_addc_co_u32_e32 v5, vcc, v5, v1, vcc
	global_load_dwordx2 v[4:5], v[4:5], off
	v_subrev_u32_e32 v6, s18, v14
	s_waitcnt vmcnt(0)
	v_subrev_u32_e32 v9, s18, v5
	v_add_u32_e32 v4, v6, v4
	v_cmp_lt_i32_e32 vcc, v4, v9
	s_and_saveexec_b64 s[4:5], vcc
	s_cbranch_execz .LBB18_36
; %bb.25:
	s_mov_b32 s0, 0
	s_mov_b64 s[6:7], 0
	v_mov_b32_e32 v12, s15
	v_mov_b32_e32 v13, s0
	s_branch .LBB18_27
.LBB18_26:                              ;   in Loop: Header=BB18_27 Depth=1
	s_or_b64 exec, exec, s[16:17]
	v_add_u32_e32 v4, 4, v4
	v_cndmask_b32_e64 v5, 0, 1, s[8:9]
	v_cmp_ge_i32_e32 vcc, v4, v9
	s_or_b64 s[6:7], vcc, s[6:7]
	v_add_co_u32_e32 v2, vcc, v2, v5
	v_addc_co_u32_e32 v3, vcc, 0, v3, vcc
	s_andn2_b64 exec, exec, s[6:7]
	s_cbranch_execz .LBB18_35
.LBB18_27:                              ; =>This Loop Header: Depth=1
                                        ;     Child Loop BB18_30 Depth 2
	v_ashrrev_i32_e32 v5, 31, v4
	v_lshlrev_b64 v[6:7], 3, v[4:5]
	v_add_co_u32_e32 v6, vcc, s14, v6
	v_addc_co_u32_e32 v7, vcc, v12, v7, vcc
	global_load_dwordx2 v[6:7], v[6:7], off
	s_mov_b64 s[16:17], 0
                                        ; implicit-def: $sgpr8_sgpr9
                                        ; implicit-def: $sgpr10_sgpr11
                                        ; implicit-def: $sgpr12_sgpr13
                                        ; implicit-def: $sgpr20_sgpr21
	s_waitcnt vmcnt(0)
	v_subrev_co_u32_e32 v6, vcc, s18, v6
	v_mul_lo_u32 v5, v6, 15
	v_subb_co_u32_e32 v7, vcc, v7, v13, vcc
	v_and_b32_e32 v8, 31, v5
	s_branch .LBB18_30
.LBB18_28:                              ;   in Loop: Header=BB18_30 Depth=2
	s_or_b64 exec, exec, s[26:27]
	s_andn2_b64 s[12:13], s[12:13], exec
	s_and_b64 s[20:21], s[24:25], exec
	s_andn2_b64 s[10:11], s[10:11], exec
	s_and_b64 s[0:1], s[0:1], exec
	s_or_b64 s[12:13], s[12:13], s[20:21]
	s_or_b64 s[10:11], s[10:11], s[0:1]
                                        ; implicit-def: $sgpr20_sgpr21
.LBB18_29:                              ;   in Loop: Header=BB18_30 Depth=2
	s_or_b64 exec, exec, s[22:23]
	s_xor_b64 s[0:1], s[10:11], -1
	s_and_b64 s[0:1], exec, s[0:1]
	s_or_b64 s[16:17], s[0:1], s[16:17]
	s_andn2_b64 s[0:1], s[20:21], exec
	s_and_b64 s[22:23], s[12:13], exec
	s_or_b64 s[20:21], s[0:1], s[22:23]
	s_andn2_b64 s[0:1], s[8:9], exec
	s_or_b64 s[8:9], s[0:1], s[22:23]
	s_andn2_b64 exec, exec, s[16:17]
	s_cbranch_execz .LBB18_26
.LBB18_30:                              ;   Parent Loop BB18_27 Depth=1
                                        ; =>  This Inner Loop Header: Depth=2
	v_lshl_add_u32 v5, v8, 3, v15
	ds_read_b64 v[10:11], v5
	s_andn2_b64 s[12:13], s[12:13], exec
	s_andn2_b64 s[10:11], s[10:11], exec
	s_waitcnt lgkmcnt(0)
	v_cmp_ne_u64_e32 vcc, v[10:11], v[6:7]
	s_and_saveexec_b64 s[22:23], vcc
	s_cbranch_execz .LBB18_29
; %bb.31:                               ;   in Loop: Header=BB18_30 Depth=2
	v_cmp_ne_u64_e32 vcc, -1, v[10:11]
                                        ; implicit-def: $sgpr24_sgpr25
                                        ; implicit-def: $sgpr0_sgpr1
	s_and_saveexec_b64 s[26:27], vcc
	s_xor_b64 s[26:27], exec, s[26:27]
; %bb.32:                               ;   in Loop: Header=BB18_30 Depth=2
	v_add_u32_e32 v5, 1, v8
	v_and_b32_e32 v8, 31, v5
	s_mov_b64 s[0:1], -1
	s_and_b64 s[24:25], s[20:21], exec
                                        ; implicit-def: $vgpr5
; %bb.33:                               ;   in Loop: Header=BB18_30 Depth=2
	s_andn2_saveexec_b64 s[26:27], s[26:27]
	s_cbranch_execz .LBB18_28
; %bb.34:                               ;   in Loop: Header=BB18_30 Depth=2
	v_pk_mov_b32 v[10:11], -1, -1
	ds_cmpst_rtn_b64 v[10:11], v5, v[10:11], v[6:7]
	s_andn2_b64 s[28:29], s[0:1], exec
	s_andn2_b64 s[24:25], s[24:25], exec
	s_waitcnt lgkmcnt(0)
	v_cmp_eq_u64_e64 s[0:1], -1, v[10:11]
	v_cmp_ne_u64_e32 vcc, -1, v[10:11]
	s_or_b64 s[20:21], s[0:1], s[20:21]
	s_and_b64 s[0:1], vcc, exec
	s_and_b64 s[20:21], s[20:21], exec
	s_or_b64 s[0:1], s[28:29], s[0:1]
	s_or_b64 s[24:25], s[24:25], s[20:21]
	s_branch .LBB18_28
.LBB18_35:
	s_or_b64 exec, exec, s[6:7]
.LBB18_36:
	s_or_b64 exec, exec, s[4:5]
.LBB18_37:
	v_mov_b32_dpp v3, v2 row_shr:1 row_mask:0xf bank_mask:0xf
	v_add_u32_e32 v2, v3, v2
	v_cmp_eq_u32_e32 vcc, 3, v14
	s_nop 0
	v_mov_b32_dpp v3, v2 row_shr:2 row_mask:0xf bank_mask:0xf
	s_and_b64 exec, exec, vcc
	s_cbranch_execz .LBB18_39
; %bb.38:
	v_mov_b32_e32 v4, s3
	v_add_co_u32_e32 v0, vcc, s2, v0
	v_addc_co_u32_e32 v1, vcc, v4, v1, vcc
	v_add_u32_e32 v2, v3, v2
	global_store_dword v[0:1], v2, off
.LBB18_39:
	s_endpgm
	.section	.rodata,"a",@progbits
	.p2align	6, 0x0
	.amdhsa_kernel _ZN9rocsparseL22csrgemm_nnz_wf_per_rowILj128ELj4ELj32ELj79EilEEvT4_PKS1_S3_PKT3_S3_S6_S3_S6_S3_PS4_21rocsparse_index_base_S8_S8_bb
		.amdhsa_group_segment_fixed_size 8192
		.amdhsa_private_segment_fixed_size 0
		.amdhsa_kernarg_size 96
		.amdhsa_user_sgpr_count 6
		.amdhsa_user_sgpr_private_segment_buffer 1
		.amdhsa_user_sgpr_dispatch_ptr 0
		.amdhsa_user_sgpr_queue_ptr 0
		.amdhsa_user_sgpr_kernarg_segment_ptr 1
		.amdhsa_user_sgpr_dispatch_id 0
		.amdhsa_user_sgpr_flat_scratch_init 0
		.amdhsa_user_sgpr_kernarg_preload_length 0
		.amdhsa_user_sgpr_kernarg_preload_offset 0
		.amdhsa_user_sgpr_private_segment_size 0
		.amdhsa_uses_dynamic_stack 0
		.amdhsa_system_sgpr_private_segment_wavefront_offset 0
		.amdhsa_system_sgpr_workgroup_id_x 1
		.amdhsa_system_sgpr_workgroup_id_y 0
		.amdhsa_system_sgpr_workgroup_id_z 0
		.amdhsa_system_sgpr_workgroup_info 0
		.amdhsa_system_vgpr_workitem_id 0
		.amdhsa_next_free_vgpr 19
		.amdhsa_next_free_sgpr 48
		.amdhsa_accum_offset 20
		.amdhsa_reserve_vcc 1
		.amdhsa_reserve_flat_scratch 0
		.amdhsa_float_round_mode_32 0
		.amdhsa_float_round_mode_16_64 0
		.amdhsa_float_denorm_mode_32 3
		.amdhsa_float_denorm_mode_16_64 3
		.amdhsa_dx10_clamp 1
		.amdhsa_ieee_mode 1
		.amdhsa_fp16_overflow 0
		.amdhsa_tg_split 0
		.amdhsa_exception_fp_ieee_invalid_op 0
		.amdhsa_exception_fp_denorm_src 0
		.amdhsa_exception_fp_ieee_div_zero 0
		.amdhsa_exception_fp_ieee_overflow 0
		.amdhsa_exception_fp_ieee_underflow 0
		.amdhsa_exception_fp_ieee_inexact 0
		.amdhsa_exception_int_div_zero 0
	.end_amdhsa_kernel
	.section	.text._ZN9rocsparseL22csrgemm_nnz_wf_per_rowILj128ELj4ELj32ELj79EilEEvT4_PKS1_S3_PKT3_S3_S6_S3_S6_S3_PS4_21rocsparse_index_base_S8_S8_bb,"axG",@progbits,_ZN9rocsparseL22csrgemm_nnz_wf_per_rowILj128ELj4ELj32ELj79EilEEvT4_PKS1_S3_PKT3_S3_S6_S3_S6_S3_PS4_21rocsparse_index_base_S8_S8_bb,comdat
.Lfunc_end18:
	.size	_ZN9rocsparseL22csrgemm_nnz_wf_per_rowILj128ELj4ELj32ELj79EilEEvT4_PKS1_S3_PKT3_S3_S6_S3_S6_S3_PS4_21rocsparse_index_base_S8_S8_bb, .Lfunc_end18-_ZN9rocsparseL22csrgemm_nnz_wf_per_rowILj128ELj4ELj32ELj79EilEEvT4_PKS1_S3_PKT3_S3_S6_S3_S6_S3_PS4_21rocsparse_index_base_S8_S8_bb
                                        ; -- End function
	.section	.AMDGPU.csdata,"",@progbits
; Kernel info:
; codeLenInByte = 1272
; NumSgprs: 52
; NumVgprs: 19
; NumAgprs: 0
; TotalNumVgprs: 19
; ScratchSize: 0
; MemoryBound: 0
; FloatMode: 240
; IeeeMode: 1
; LDSByteSize: 8192 bytes/workgroup (compile time only)
; SGPRBlocks: 6
; VGPRBlocks: 2
; NumSGPRsForWavesPerEU: 52
; NumVGPRsForWavesPerEU: 19
; AccumOffset: 20
; Occupancy: 4
; WaveLimiterHint : 1
; COMPUTE_PGM_RSRC2:SCRATCH_EN: 0
; COMPUTE_PGM_RSRC2:USER_SGPR: 6
; COMPUTE_PGM_RSRC2:TRAP_HANDLER: 0
; COMPUTE_PGM_RSRC2:TGID_X_EN: 1
; COMPUTE_PGM_RSRC2:TGID_Y_EN: 0
; COMPUTE_PGM_RSRC2:TGID_Z_EN: 0
; COMPUTE_PGM_RSRC2:TIDIG_COMP_CNT: 0
; COMPUTE_PGM_RSRC3_GFX90A:ACCUM_OFFSET: 4
; COMPUTE_PGM_RSRC3_GFX90A:TG_SPLIT: 0
	.section	.text._ZN9rocsparseL22csrgemm_nnz_wf_per_rowILj256ELj8ELj64ELj79EilEEvT4_PKS1_S3_PKT3_S3_S6_S3_S6_S3_PS4_21rocsparse_index_base_S8_S8_bb,"axG",@progbits,_ZN9rocsparseL22csrgemm_nnz_wf_per_rowILj256ELj8ELj64ELj79EilEEvT4_PKS1_S3_PKT3_S3_S6_S3_S6_S3_PS4_21rocsparse_index_base_S8_S8_bb,comdat
	.globl	_ZN9rocsparseL22csrgemm_nnz_wf_per_rowILj256ELj8ELj64ELj79EilEEvT4_PKS1_S3_PKT3_S3_S6_S3_S6_S3_PS4_21rocsparse_index_base_S8_S8_bb ; -- Begin function _ZN9rocsparseL22csrgemm_nnz_wf_per_rowILj256ELj8ELj64ELj79EilEEvT4_PKS1_S3_PKT3_S3_S6_S3_S6_S3_PS4_21rocsparse_index_base_S8_S8_bb
	.p2align	8
	.type	_ZN9rocsparseL22csrgemm_nnz_wf_per_rowILj256ELj8ELj64ELj79EilEEvT4_PKS1_S3_PKT3_S3_S6_S3_S6_S3_PS4_21rocsparse_index_base_S8_S8_bb,@function
_ZN9rocsparseL22csrgemm_nnz_wf_per_rowILj256ELj8ELj64ELj79EilEEvT4_PKS1_S3_PKT3_S3_S6_S3_S6_S3_PS4_21rocsparse_index_base_S8_S8_bb: ; @_ZN9rocsparseL22csrgemm_nnz_wf_per_rowILj256ELj8ELj64ELj79EilEEvT4_PKS1_S3_PKT3_S3_S6_S3_S6_S3_PS4_21rocsparse_index_base_S8_S8_bb
; %bb.0:
	s_load_dwordx2 s[2:3], s[4:5], 0x48
	s_load_dwordx8 s[16:23], s[4:5], 0x8
	s_load_dwordx8 s[8:15], s[4:5], 0x28
	v_and_b32_e32 v14, 7, v0
	v_lshrrev_b32_e32 v2, 3, v0
	v_lshlrev_b32_e32 v0, 3, v14
	v_lshl_or_b32 v4, v2, 9, v0
	v_mov_b32_e32 v0, -1
	v_or_b32_e32 v3, -8, v14
	s_mov_b64 s[0:1], 0
	v_mov_b32_e32 v1, v0
.LBB19_1:                               ; =>This Inner Loop Header: Depth=1
	v_add_u32_e32 v3, 8, v3
	v_cmp_lt_u32_e32 vcc, 55, v3
	ds_write_b64 v4, v[0:1]
	s_or_b64 s[0:1], vcc, s[0:1]
	v_add_u32_e32 v4, 64, v4
	s_andn2_b64 exec, exec, s[0:1]
	s_cbranch_execnz .LBB19_1
; %bb.2:
	s_or_b64 exec, exec, s[0:1]
	s_load_dwordx2 s[0:1], s[4:5], 0x0
	s_lshl_b32 s6, s6, 5
	s_and_b32 s6, s6, 0x1fffffe0
	v_or_b32_e32 v0, s6, v2
	v_mov_b32_e32 v1, 0
	s_waitcnt lgkmcnt(0)
	v_cmp_gt_i64_e32 vcc, s[0:1], v[0:1]
	s_and_saveexec_b64 s[0:1], vcc
	s_cbranch_execz .LBB19_39
; %bb.3:
	s_cmp_eq_u64 s[18:19], 0
	s_cbranch_scc1 .LBB19_5
; %bb.4:
	s_load_dwordx2 s[0:1], s[16:17], 0x0
	v_lshlrev_b32_e32 v0, 3, v0
	s_waitcnt lgkmcnt(0)
	s_lshl_b64 s[0:1], s[0:1], 3
	s_add_u32 s0, s18, s0
	s_addc_u32 s1, s19, s1
	global_load_dwordx2 v[0:1], v0, s[0:1]
.LBB19_5:
	s_load_dwordx4 s[16:19], s[4:5], 0x50
	v_lshlrev_b32_e32 v15, 9, v2
	v_pk_mov_b32 v[2:3], 0, 0
	s_waitcnt vmcnt(0)
	v_lshlrev_b64 v[0:1], 2, v[0:1]
	s_waitcnt lgkmcnt(0)
	s_bitcmp0_b32 s19, 0
	s_cbranch_scc1 .LBB19_23
; %bb.6:
	v_mov_b32_e32 v3, s21
	v_add_co_u32_e32 v2, vcc, s20, v0
	v_addc_co_u32_e32 v3, vcc, v3, v1, vcc
	global_load_dwordx2 v[2:3], v[2:3], off
	v_subrev_u32_e32 v4, s16, v14
	s_waitcnt vmcnt(0)
	v_subrev_u32_e32 v11, s16, v3
	v_add_u32_e32 v4, v4, v2
	v_cmp_lt_i32_e32 vcc, v4, v11
	v_pk_mov_b32 v[2:3], 0, 0
	s_and_saveexec_b64 s[6:7], vcc
	s_cbranch_execz .LBB19_22
; %bb.7:
	s_mov_b32 s0, 0
	s_mov_b32 s19, s17
	;; [unrolled: 1-line block ×3, first 2 shown]
	s_mov_b64 s[20:21], 0
	v_pk_mov_b32 v[2:3], 0, 0
	v_mov_b32_e32 v16, s23
	v_mov_b32_e32 v17, s0
	;; [unrolled: 1-line block ×3, first 2 shown]
	s_branch .LBB19_10
.LBB19_8:                               ;   in Loop: Header=BB19_10 Depth=1
	s_or_b64 exec, exec, s[26:27]
.LBB19_9:                               ;   in Loop: Header=BB19_10 Depth=1
	s_or_b64 exec, exec, s[24:25]
	v_add_u32_e32 v4, 8, v4
	v_cmp_ge_i32_e32 vcc, v4, v11
	s_or_b64 s[20:21], vcc, s[20:21]
	s_andn2_b64 exec, exec, s[20:21]
	s_cbranch_execz .LBB19_21
.LBB19_10:                              ; =>This Loop Header: Depth=1
                                        ;     Child Loop BB19_13 Depth 2
                                        ;       Child Loop BB19_16 Depth 3
	v_ashrrev_i32_e32 v5, 31, v4
	v_lshlrev_b64 v[6:7], 3, v[4:5]
	v_add_co_u32_e32 v6, vcc, s22, v6
	v_addc_co_u32_e32 v7, vcc, v16, v7, vcc
	global_load_dwordx2 v[6:7], v[6:7], off
	s_waitcnt vmcnt(0)
	v_subrev_co_u32_e32 v6, vcc, s16, v6
	v_subb_co_u32_e32 v7, vcc, v7, v17, vcc
	v_lshlrev_b64 v[6:7], 2, v[6:7]
	v_add_co_u32_e32 v6, vcc, s8, v6
	v_addc_co_u32_e32 v7, vcc, v18, v7, vcc
	global_load_dwordx2 v[6:7], v[6:7], off
	s_waitcnt vmcnt(0)
	v_cmp_lt_i32_e32 vcc, v6, v7
	s_and_saveexec_b64 s[24:25], vcc
	s_cbranch_execz .LBB19_9
; %bb.11:                               ;   in Loop: Header=BB19_10 Depth=1
	v_subrev_u32_e32 v5, s17, v7
	v_subrev_u32_e32 v6, s17, v6
	s_mov_b64 s[26:27], 0
	s_branch .LBB19_13
.LBB19_12:                              ;   in Loop: Header=BB19_13 Depth=2
	s_or_b64 exec, exec, s[36:37]
	v_add_u32_e32 v6, 1, v6
	v_cndmask_b32_e64 v7, 0, 1, s[28:29]
	v_cmp_ge_i32_e32 vcc, v6, v5
	s_or_b64 s[26:27], vcc, s[26:27]
	v_add_co_u32_e32 v2, vcc, v2, v7
	v_addc_co_u32_e32 v3, vcc, 0, v3, vcc
	s_andn2_b64 exec, exec, s[26:27]
	s_cbranch_execz .LBB19_8
.LBB19_13:                              ;   Parent Loop BB19_10 Depth=1
                                        ; =>  This Loop Header: Depth=2
                                        ;       Child Loop BB19_16 Depth 3
	v_ashrrev_i32_e32 v7, 31, v6
	v_lshlrev_b64 v[8:9], 3, v[6:7]
	v_mov_b32_e32 v7, s11
	v_add_co_u32_e32 v8, vcc, s10, v8
	v_addc_co_u32_e32 v9, vcc, v7, v9, vcc
	global_load_dwordx2 v[8:9], v[8:9], off
	v_mov_b32_e32 v7, s33
	s_mov_b64 s[36:37], 0
                                        ; implicit-def: $sgpr28_sgpr29
                                        ; implicit-def: $sgpr30_sgpr31
                                        ; implicit-def: $sgpr34_sgpr35
                                        ; implicit-def: $sgpr38_sgpr39
	s_waitcnt vmcnt(0)
	v_subrev_co_u32_e32 v8, vcc, s19, v8
	v_subb_co_u32_e32 v9, vcc, v9, v7, vcc
	v_mul_lo_u32 v7, v8, 15
	v_and_b32_e32 v10, 63, v7
	s_branch .LBB19_16
.LBB19_14:                              ;   in Loop: Header=BB19_16 Depth=3
	s_or_b64 exec, exec, s[44:45]
	s_andn2_b64 s[34:35], s[34:35], exec
	s_and_b64 s[38:39], s[42:43], exec
	s_andn2_b64 s[30:31], s[30:31], exec
	s_and_b64 s[0:1], s[0:1], exec
	s_or_b64 s[34:35], s[34:35], s[38:39]
	s_or_b64 s[30:31], s[30:31], s[0:1]
                                        ; implicit-def: $sgpr38_sgpr39
.LBB19_15:                              ;   in Loop: Header=BB19_16 Depth=3
	s_or_b64 exec, exec, s[40:41]
	s_xor_b64 s[0:1], s[30:31], -1
	s_and_b64 s[0:1], exec, s[0:1]
	s_or_b64 s[36:37], s[0:1], s[36:37]
	s_andn2_b64 s[0:1], s[38:39], exec
	s_and_b64 s[40:41], s[34:35], exec
	s_or_b64 s[38:39], s[0:1], s[40:41]
	s_andn2_b64 s[0:1], s[28:29], exec
	s_or_b64 s[28:29], s[0:1], s[40:41]
	s_andn2_b64 exec, exec, s[36:37]
	s_cbranch_execz .LBB19_12
.LBB19_16:                              ;   Parent Loop BB19_10 Depth=1
                                        ;     Parent Loop BB19_13 Depth=2
                                        ; =>    This Inner Loop Header: Depth=3
	v_lshl_add_u32 v7, v10, 3, v15
	ds_read_b64 v[12:13], v7
	s_andn2_b64 s[34:35], s[34:35], exec
	s_andn2_b64 s[30:31], s[30:31], exec
	s_waitcnt lgkmcnt(0)
	v_cmp_ne_u64_e32 vcc, v[12:13], v[8:9]
	s_and_saveexec_b64 s[40:41], vcc
	s_cbranch_execz .LBB19_15
; %bb.17:                               ;   in Loop: Header=BB19_16 Depth=3
	v_cmp_ne_u64_e32 vcc, -1, v[12:13]
                                        ; implicit-def: $sgpr42_sgpr43
                                        ; implicit-def: $sgpr0_sgpr1
	s_and_saveexec_b64 s[44:45], vcc
	s_xor_b64 s[44:45], exec, s[44:45]
; %bb.18:                               ;   in Loop: Header=BB19_16 Depth=3
	v_add_u32_e32 v7, 1, v10
	v_and_b32_e32 v10, 63, v7
	s_mov_b64 s[0:1], -1
	s_and_b64 s[42:43], s[38:39], exec
                                        ; implicit-def: $vgpr7
; %bb.19:                               ;   in Loop: Header=BB19_16 Depth=3
	s_andn2_saveexec_b64 s[44:45], s[44:45]
	s_cbranch_execz .LBB19_14
; %bb.20:                               ;   in Loop: Header=BB19_16 Depth=3
	v_pk_mov_b32 v[12:13], -1, -1
	ds_cmpst_rtn_b64 v[12:13], v7, v[12:13], v[8:9]
	s_andn2_b64 s[46:47], s[0:1], exec
	s_andn2_b64 s[42:43], s[42:43], exec
	s_waitcnt lgkmcnt(0)
	v_cmp_eq_u64_e64 s[0:1], -1, v[12:13]
	v_cmp_ne_u64_e32 vcc, -1, v[12:13]
	s_or_b64 s[38:39], s[0:1], s[38:39]
	s_and_b64 s[0:1], vcc, exec
	s_and_b64 s[38:39], s[38:39], exec
	s_or_b64 s[0:1], s[46:47], s[0:1]
	s_or_b64 s[42:43], s[42:43], s[38:39]
	s_branch .LBB19_14
.LBB19_21:
	s_or_b64 exec, exec, s[20:21]
.LBB19_22:
	s_or_b64 exec, exec, s[6:7]
.LBB19_23:
	s_load_dword s0, s[4:5], 0x5c
	s_waitcnt lgkmcnt(0)
	s_bfe_u32 s0, s0, 0x10008
	s_cmp_eq_u32 s0, 0
	s_cbranch_scc1 .LBB19_37
; %bb.24:
	v_mov_b32_e32 v5, s13
	v_add_co_u32_e32 v4, vcc, s12, v0
	v_addc_co_u32_e32 v5, vcc, v5, v1, vcc
	global_load_dwordx2 v[4:5], v[4:5], off
	v_subrev_u32_e32 v6, s18, v14
	s_waitcnt vmcnt(0)
	v_subrev_u32_e32 v9, s18, v5
	v_add_u32_e32 v4, v6, v4
	v_cmp_lt_i32_e32 vcc, v4, v9
	s_and_saveexec_b64 s[4:5], vcc
	s_cbranch_execz .LBB19_36
; %bb.25:
	s_mov_b32 s0, 0
	s_mov_b64 s[6:7], 0
	v_mov_b32_e32 v12, s15
	v_mov_b32_e32 v13, s0
	s_branch .LBB19_27
.LBB19_26:                              ;   in Loop: Header=BB19_27 Depth=1
	s_or_b64 exec, exec, s[16:17]
	v_add_u32_e32 v4, 8, v4
	v_cndmask_b32_e64 v5, 0, 1, s[8:9]
	v_cmp_ge_i32_e32 vcc, v4, v9
	s_or_b64 s[6:7], vcc, s[6:7]
	v_add_co_u32_e32 v2, vcc, v2, v5
	v_addc_co_u32_e32 v3, vcc, 0, v3, vcc
	s_andn2_b64 exec, exec, s[6:7]
	s_cbranch_execz .LBB19_35
.LBB19_27:                              ; =>This Loop Header: Depth=1
                                        ;     Child Loop BB19_30 Depth 2
	v_ashrrev_i32_e32 v5, 31, v4
	v_lshlrev_b64 v[6:7], 3, v[4:5]
	v_add_co_u32_e32 v6, vcc, s14, v6
	v_addc_co_u32_e32 v7, vcc, v12, v7, vcc
	global_load_dwordx2 v[6:7], v[6:7], off
	s_mov_b64 s[16:17], 0
                                        ; implicit-def: $sgpr8_sgpr9
                                        ; implicit-def: $sgpr10_sgpr11
                                        ; implicit-def: $sgpr12_sgpr13
                                        ; implicit-def: $sgpr20_sgpr21
	s_waitcnt vmcnt(0)
	v_subrev_co_u32_e32 v6, vcc, s18, v6
	v_mul_lo_u32 v5, v6, 15
	v_subb_co_u32_e32 v7, vcc, v7, v13, vcc
	v_and_b32_e32 v8, 63, v5
	s_branch .LBB19_30
.LBB19_28:                              ;   in Loop: Header=BB19_30 Depth=2
	s_or_b64 exec, exec, s[26:27]
	s_andn2_b64 s[12:13], s[12:13], exec
	s_and_b64 s[20:21], s[24:25], exec
	s_andn2_b64 s[10:11], s[10:11], exec
	s_and_b64 s[0:1], s[0:1], exec
	s_or_b64 s[12:13], s[12:13], s[20:21]
	s_or_b64 s[10:11], s[10:11], s[0:1]
                                        ; implicit-def: $sgpr20_sgpr21
.LBB19_29:                              ;   in Loop: Header=BB19_30 Depth=2
	s_or_b64 exec, exec, s[22:23]
	s_xor_b64 s[0:1], s[10:11], -1
	s_and_b64 s[0:1], exec, s[0:1]
	s_or_b64 s[16:17], s[0:1], s[16:17]
	s_andn2_b64 s[0:1], s[20:21], exec
	s_and_b64 s[22:23], s[12:13], exec
	s_or_b64 s[20:21], s[0:1], s[22:23]
	s_andn2_b64 s[0:1], s[8:9], exec
	s_or_b64 s[8:9], s[0:1], s[22:23]
	s_andn2_b64 exec, exec, s[16:17]
	s_cbranch_execz .LBB19_26
.LBB19_30:                              ;   Parent Loop BB19_27 Depth=1
                                        ; =>  This Inner Loop Header: Depth=2
	v_lshl_add_u32 v5, v8, 3, v15
	ds_read_b64 v[10:11], v5
	s_andn2_b64 s[12:13], s[12:13], exec
	s_andn2_b64 s[10:11], s[10:11], exec
	s_waitcnt lgkmcnt(0)
	v_cmp_ne_u64_e32 vcc, v[10:11], v[6:7]
	s_and_saveexec_b64 s[22:23], vcc
	s_cbranch_execz .LBB19_29
; %bb.31:                               ;   in Loop: Header=BB19_30 Depth=2
	v_cmp_ne_u64_e32 vcc, -1, v[10:11]
                                        ; implicit-def: $sgpr24_sgpr25
                                        ; implicit-def: $sgpr0_sgpr1
	s_and_saveexec_b64 s[26:27], vcc
	s_xor_b64 s[26:27], exec, s[26:27]
; %bb.32:                               ;   in Loop: Header=BB19_30 Depth=2
	v_add_u32_e32 v5, 1, v8
	v_and_b32_e32 v8, 63, v5
	s_mov_b64 s[0:1], -1
	s_and_b64 s[24:25], s[20:21], exec
                                        ; implicit-def: $vgpr5
; %bb.33:                               ;   in Loop: Header=BB19_30 Depth=2
	s_andn2_saveexec_b64 s[26:27], s[26:27]
	s_cbranch_execz .LBB19_28
; %bb.34:                               ;   in Loop: Header=BB19_30 Depth=2
	v_pk_mov_b32 v[10:11], -1, -1
	ds_cmpst_rtn_b64 v[10:11], v5, v[10:11], v[6:7]
	s_andn2_b64 s[28:29], s[0:1], exec
	s_andn2_b64 s[24:25], s[24:25], exec
	s_waitcnt lgkmcnt(0)
	v_cmp_eq_u64_e64 s[0:1], -1, v[10:11]
	v_cmp_ne_u64_e32 vcc, -1, v[10:11]
	s_or_b64 s[20:21], s[0:1], s[20:21]
	s_and_b64 s[0:1], vcc, exec
	s_and_b64 s[20:21], s[20:21], exec
	s_or_b64 s[0:1], s[28:29], s[0:1]
	s_or_b64 s[24:25], s[24:25], s[20:21]
	s_branch .LBB19_28
.LBB19_35:
	s_or_b64 exec, exec, s[6:7]
.LBB19_36:
	s_or_b64 exec, exec, s[4:5]
.LBB19_37:
	v_mov_b32_dpp v3, v2 row_shr:1 row_mask:0xf bank_mask:0xf
	v_add_u32_e32 v2, v2, v3
	v_cmp_eq_u32_e32 vcc, 7, v14
	s_nop 0
	v_mov_b32_dpp v3, v2 row_shr:2 row_mask:0xf bank_mask:0xf
	v_add_u32_e32 v2, v3, v2
	s_nop 1
	v_mov_b32_dpp v3, v2 row_shr:4 row_mask:0xf bank_mask:0xe
	s_and_b64 exec, exec, vcc
	s_cbranch_execz .LBB19_39
; %bb.38:
	v_mov_b32_e32 v4, s3
	v_add_co_u32_e32 v0, vcc, s2, v0
	v_addc_co_u32_e32 v1, vcc, v4, v1, vcc
	v_add_u32_e32 v2, v3, v2
	global_store_dword v[0:1], v2, off
.LBB19_39:
	s_endpgm
	.section	.rodata,"a",@progbits
	.p2align	6, 0x0
	.amdhsa_kernel _ZN9rocsparseL22csrgemm_nnz_wf_per_rowILj256ELj8ELj64ELj79EilEEvT4_PKS1_S3_PKT3_S3_S6_S3_S6_S3_PS4_21rocsparse_index_base_S8_S8_bb
		.amdhsa_group_segment_fixed_size 16384
		.amdhsa_private_segment_fixed_size 0
		.amdhsa_kernarg_size 96
		.amdhsa_user_sgpr_count 6
		.amdhsa_user_sgpr_private_segment_buffer 1
		.amdhsa_user_sgpr_dispatch_ptr 0
		.amdhsa_user_sgpr_queue_ptr 0
		.amdhsa_user_sgpr_kernarg_segment_ptr 1
		.amdhsa_user_sgpr_dispatch_id 0
		.amdhsa_user_sgpr_flat_scratch_init 0
		.amdhsa_user_sgpr_kernarg_preload_length 0
		.amdhsa_user_sgpr_kernarg_preload_offset 0
		.amdhsa_user_sgpr_private_segment_size 0
		.amdhsa_uses_dynamic_stack 0
		.amdhsa_system_sgpr_private_segment_wavefront_offset 0
		.amdhsa_system_sgpr_workgroup_id_x 1
		.amdhsa_system_sgpr_workgroup_id_y 0
		.amdhsa_system_sgpr_workgroup_id_z 0
		.amdhsa_system_sgpr_workgroup_info 0
		.amdhsa_system_vgpr_workitem_id 0
		.amdhsa_next_free_vgpr 19
		.amdhsa_next_free_sgpr 48
		.amdhsa_accum_offset 20
		.amdhsa_reserve_vcc 1
		.amdhsa_reserve_flat_scratch 0
		.amdhsa_float_round_mode_32 0
		.amdhsa_float_round_mode_16_64 0
		.amdhsa_float_denorm_mode_32 3
		.amdhsa_float_denorm_mode_16_64 3
		.amdhsa_dx10_clamp 1
		.amdhsa_ieee_mode 1
		.amdhsa_fp16_overflow 0
		.amdhsa_tg_split 0
		.amdhsa_exception_fp_ieee_invalid_op 0
		.amdhsa_exception_fp_denorm_src 0
		.amdhsa_exception_fp_ieee_div_zero 0
		.amdhsa_exception_fp_ieee_overflow 0
		.amdhsa_exception_fp_ieee_underflow 0
		.amdhsa_exception_fp_ieee_inexact 0
		.amdhsa_exception_int_div_zero 0
	.end_amdhsa_kernel
	.section	.text._ZN9rocsparseL22csrgemm_nnz_wf_per_rowILj256ELj8ELj64ELj79EilEEvT4_PKS1_S3_PKT3_S3_S6_S3_S6_S3_PS4_21rocsparse_index_base_S8_S8_bb,"axG",@progbits,_ZN9rocsparseL22csrgemm_nnz_wf_per_rowILj256ELj8ELj64ELj79EilEEvT4_PKS1_S3_PKT3_S3_S6_S3_S6_S3_PS4_21rocsparse_index_base_S8_S8_bb,comdat
.Lfunc_end19:
	.size	_ZN9rocsparseL22csrgemm_nnz_wf_per_rowILj256ELj8ELj64ELj79EilEEvT4_PKS1_S3_PKT3_S3_S6_S3_S6_S3_PS4_21rocsparse_index_base_S8_S8_bb, .Lfunc_end19-_ZN9rocsparseL22csrgemm_nnz_wf_per_rowILj256ELj8ELj64ELj79EilEEvT4_PKS1_S3_PKT3_S3_S6_S3_S6_S3_PS4_21rocsparse_index_base_S8_S8_bb
                                        ; -- End function
	.section	.AMDGPU.csdata,"",@progbits
; Kernel info:
; codeLenInByte = 1272
; NumSgprs: 52
; NumVgprs: 19
; NumAgprs: 0
; TotalNumVgprs: 19
; ScratchSize: 0
; MemoryBound: 0
; FloatMode: 240
; IeeeMode: 1
; LDSByteSize: 16384 bytes/workgroup (compile time only)
; SGPRBlocks: 6
; VGPRBlocks: 2
; NumSGPRsForWavesPerEU: 52
; NumVGPRsForWavesPerEU: 19
; AccumOffset: 20
; Occupancy: 4
; WaveLimiterHint : 1
; COMPUTE_PGM_RSRC2:SCRATCH_EN: 0
; COMPUTE_PGM_RSRC2:USER_SGPR: 6
; COMPUTE_PGM_RSRC2:TRAP_HANDLER: 0
; COMPUTE_PGM_RSRC2:TGID_X_EN: 1
; COMPUTE_PGM_RSRC2:TGID_Y_EN: 0
; COMPUTE_PGM_RSRC2:TGID_Z_EN: 0
; COMPUTE_PGM_RSRC2:TIDIG_COMP_CNT: 0
; COMPUTE_PGM_RSRC3_GFX90A:ACCUM_OFFSET: 4
; COMPUTE_PGM_RSRC3_GFX90A:TG_SPLIT: 0
	.section	.text._ZN9rocsparseL25csrgemm_nnz_block_per_rowILj128ELj8ELj512ELj79EilEEvPKT4_S3_PKT3_S3_S6_S3_S6_S3_PS4_21rocsparse_index_base_S8_S8_bb,"axG",@progbits,_ZN9rocsparseL25csrgemm_nnz_block_per_rowILj128ELj8ELj512ELj79EilEEvPKT4_S3_PKT3_S3_S6_S3_S6_S3_PS4_21rocsparse_index_base_S8_S8_bb,comdat
	.globl	_ZN9rocsparseL25csrgemm_nnz_block_per_rowILj128ELj8ELj512ELj79EilEEvPKT4_S3_PKT3_S3_S6_S3_S6_S3_PS4_21rocsparse_index_base_S8_S8_bb ; -- Begin function _ZN9rocsparseL25csrgemm_nnz_block_per_rowILj128ELj8ELj512ELj79EilEEvPKT4_S3_PKT3_S3_S6_S3_S6_S3_PS4_21rocsparse_index_base_S8_S8_bb
	.p2align	8
	.type	_ZN9rocsparseL25csrgemm_nnz_block_per_rowILj128ELj8ELj512ELj79EilEEvPKT4_S3_PKT3_S3_S6_S3_S6_S3_PS4_21rocsparse_index_base_S8_S8_bb,@function
_ZN9rocsparseL25csrgemm_nnz_block_per_rowILj128ELj8ELj512ELj79EilEEvPKT4_S3_PKT3_S3_S6_S3_S6_S3_PS4_21rocsparse_index_base_S8_S8_bb: ; @_ZN9rocsparseL25csrgemm_nnz_block_per_rowILj128ELj8ELj512ELj79EilEEvPKT4_S3_PKT3_S3_S6_S3_S6_S3_PS4_21rocsparse_index_base_S8_S8_bb
; %bb.0:
	s_load_dwordx8 s[16:23], s[4:5], 0x0
	s_mov_b32 s7, 0
	v_lshl_add_u32 v1, v0, 3, 0
	s_waitcnt lgkmcnt(0)
	s_load_dwordx2 s[0:1], s[16:17], 0x0
	s_load_dwordx2 s[2:3], s[4:5], 0x40
	s_load_dwordx8 s[8:15], s[4:5], 0x20
	s_waitcnt lgkmcnt(0)
	s_lshl_b64 s[0:1], s[0:1], 3
	s_add_u32 s16, s18, s0
	s_addc_u32 s17, s19, s1
	s_lshl_b64 s[0:1], s[6:7], 3
	s_add_u32 s0, s16, s0
	s_addc_u32 s1, s17, s1
	s_load_dwordx2 s[6:7], s[0:1], 0x0
	s_movk_i32 s0, 0x200
	v_cmp_gt_u32_e32 vcc, s0, v0
	s_and_saveexec_b64 s[0:1], vcc
	s_cbranch_execz .LBB20_3
; %bb.1:
	v_mov_b32_e32 v2, -1
	v_or_b32_e32 v4, 0xffffff80, v0
	s_mov_b64 s[16:17], 0
	v_mov_b32_e32 v3, v2
	s_movk_i32 s18, 0x17f
	v_mov_b32_e32 v5, v1
.LBB20_2:                               ; =>This Inner Loop Header: Depth=1
	v_add_u32_e32 v4, 0x80, v4
	v_cmp_lt_u32_e32 vcc, s18, v4
	ds_write_b64 v5, v[2:3]
	s_or_b64 s[16:17], vcc, s[16:17]
	v_add_u32_e32 v5, 0x400, v5
	s_andn2_b64 exec, exec, s[16:17]
	s_cbranch_execnz .LBB20_2
.LBB20_3:
	s_or_b64 exec, exec, s[0:1]
	s_load_dwordx4 s[16:19], s[4:5], 0x48
	v_and_b32_e32 v15, 7, v0
	v_lshrrev_b32_e32 v14, 3, v0
	v_pk_mov_b32 v[2:3], 0, 0
	s_waitcnt lgkmcnt(0)
	s_bitcmp1_b32 s19, 0
	s_cselect_b64 s[0:1], -1, 0
	s_and_b64 vcc, exec, s[0:1]
	s_barrier
	s_cbranch_vccz .LBB20_21
; %bb.4:
	s_lshl_b64 s[0:1], s[6:7], 2
	s_add_u32 s0, s20, s0
	s_addc_u32 s1, s21, s1
	s_load_dwordx2 s[0:1], s[0:1], 0x0
	v_subrev_u32_e32 v2, s16, v14
	s_waitcnt lgkmcnt(0)
	s_sub_i32 s19, s1, s16
	v_add_u32_e32 v4, s0, v2
	v_cmp_gt_i32_e32 vcc, s19, v4
	v_pk_mov_b32 v[2:3], 0, 0
	s_and_saveexec_b64 s[20:21], vcc
	s_cbranch_execz .LBB20_20
; %bb.5:
	s_mov_b32 s0, 0
	v_subrev_u32_e32 v11, s17, v15
	s_mov_b32 s33, s17
	s_mov_b32 s48, s0
	s_mov_b64 s[24:25], 0
	v_pk_mov_b32 v[2:3], 0, 0
	v_mov_b32_e32 v16, s23
	v_mov_b32_e32 v17, s0
	;; [unrolled: 1-line block ×3, first 2 shown]
	s_movk_i32 s9, 0x4f
	s_branch .LBB20_8
.LBB20_6:                               ;   in Loop: Header=BB20_8 Depth=1
	s_or_b64 exec, exec, s[28:29]
.LBB20_7:                               ;   in Loop: Header=BB20_8 Depth=1
	s_or_b64 exec, exec, s[26:27]
	v_add_u32_e32 v4, 16, v4
	v_cmp_le_i32_e32 vcc, s19, v4
	s_or_b64 s[24:25], vcc, s[24:25]
	s_andn2_b64 exec, exec, s[24:25]
	s_cbranch_execz .LBB20_19
.LBB20_8:                               ; =>This Loop Header: Depth=1
                                        ;     Child Loop BB20_11 Depth 2
                                        ;       Child Loop BB20_14 Depth 3
	v_ashrrev_i32_e32 v5, 31, v4
	v_lshlrev_b64 v[6:7], 3, v[4:5]
	v_add_co_u32_e32 v6, vcc, s22, v6
	v_addc_co_u32_e32 v7, vcc, v16, v7, vcc
	global_load_dwordx2 v[6:7], v[6:7], off
	s_waitcnt vmcnt(0)
	v_subrev_co_u32_e32 v6, vcc, s16, v6
	v_subb_co_u32_e32 v7, vcc, v7, v17, vcc
	v_lshlrev_b64 v[6:7], 2, v[6:7]
	v_add_co_u32_e32 v6, vcc, s8, v6
	v_addc_co_u32_e32 v7, vcc, v18, v7, vcc
	global_load_dwordx2 v[6:7], v[6:7], off
	s_waitcnt vmcnt(0)
	v_subrev_u32_e32 v5, s17, v7
	v_add_u32_e32 v6, v11, v6
	v_cmp_lt_i32_e32 vcc, v6, v5
	s_and_saveexec_b64 s[26:27], vcc
	s_cbranch_execz .LBB20_7
; %bb.9:                                ;   in Loop: Header=BB20_8 Depth=1
	s_mov_b64 s[28:29], 0
	s_branch .LBB20_11
.LBB20_10:                              ;   in Loop: Header=BB20_11 Depth=2
	s_or_b64 exec, exec, s[38:39]
	v_add_u32_e32 v6, 8, v6
	v_cndmask_b32_e64 v7, 0, 1, s[30:31]
	v_cmp_ge_i32_e32 vcc, v6, v5
	s_or_b64 s[28:29], vcc, s[28:29]
	v_add_co_u32_e32 v2, vcc, v2, v7
	v_addc_co_u32_e32 v3, vcc, 0, v3, vcc
	s_andn2_b64 exec, exec, s[28:29]
	s_cbranch_execz .LBB20_6
.LBB20_11:                              ;   Parent Loop BB20_8 Depth=1
                                        ; =>  This Loop Header: Depth=2
                                        ;       Child Loop BB20_14 Depth 3
	v_ashrrev_i32_e32 v7, 31, v6
	v_lshlrev_b64 v[8:9], 3, v[6:7]
	v_mov_b32_e32 v7, s11
	v_add_co_u32_e32 v8, vcc, s10, v8
	v_addc_co_u32_e32 v9, vcc, v7, v9, vcc
	global_load_dwordx2 v[8:9], v[8:9], off
	v_mov_b32_e32 v7, s48
	s_mov_b64 s[38:39], 0
                                        ; implicit-def: $sgpr30_sgpr31
                                        ; implicit-def: $sgpr34_sgpr35
                                        ; implicit-def: $sgpr36_sgpr37
                                        ; implicit-def: $sgpr40_sgpr41
	s_waitcnt vmcnt(0)
	v_subrev_co_u32_e32 v8, vcc, s33, v8
	v_subb_co_u32_e32 v9, vcc, v9, v7, vcc
	v_mul_lo_u32 v7, v8, s9
	v_and_b32_e32 v10, 0x1ff, v7
	s_branch .LBB20_14
.LBB20_12:                              ;   in Loop: Header=BB20_14 Depth=3
	s_or_b64 exec, exec, s[46:47]
	s_andn2_b64 s[36:37], s[36:37], exec
	s_and_b64 s[40:41], s[44:45], exec
	s_andn2_b64 s[34:35], s[34:35], exec
	s_and_b64 s[0:1], s[0:1], exec
	s_or_b64 s[36:37], s[36:37], s[40:41]
	s_or_b64 s[34:35], s[34:35], s[0:1]
                                        ; implicit-def: $sgpr40_sgpr41
.LBB20_13:                              ;   in Loop: Header=BB20_14 Depth=3
	s_or_b64 exec, exec, s[42:43]
	s_xor_b64 s[0:1], s[34:35], -1
	s_and_b64 s[0:1], exec, s[0:1]
	s_or_b64 s[38:39], s[0:1], s[38:39]
	s_andn2_b64 s[0:1], s[40:41], exec
	s_and_b64 s[42:43], s[36:37], exec
	s_or_b64 s[40:41], s[0:1], s[42:43]
	s_andn2_b64 s[0:1], s[30:31], exec
	s_or_b64 s[30:31], s[0:1], s[42:43]
	s_andn2_b64 exec, exec, s[38:39]
	s_cbranch_execz .LBB20_10
.LBB20_14:                              ;   Parent Loop BB20_8 Depth=1
                                        ;     Parent Loop BB20_11 Depth=2
                                        ; =>    This Inner Loop Header: Depth=3
	v_lshl_add_u32 v7, v10, 3, 0
	ds_read_b64 v[12:13], v7
	s_andn2_b64 s[36:37], s[36:37], exec
	s_andn2_b64 s[34:35], s[34:35], exec
	s_waitcnt lgkmcnt(0)
	v_cmp_ne_u64_e32 vcc, v[12:13], v[8:9]
	s_and_saveexec_b64 s[42:43], vcc
	s_cbranch_execz .LBB20_13
; %bb.15:                               ;   in Loop: Header=BB20_14 Depth=3
	v_cmp_ne_u64_e32 vcc, -1, v[12:13]
                                        ; implicit-def: $sgpr44_sgpr45
                                        ; implicit-def: $sgpr0_sgpr1
	s_and_saveexec_b64 s[46:47], vcc
	s_xor_b64 s[46:47], exec, s[46:47]
; %bb.16:                               ;   in Loop: Header=BB20_14 Depth=3
	v_add_u32_e32 v7, 1, v10
	v_and_b32_e32 v10, 0x1ff, v7
	s_mov_b64 s[0:1], -1
	s_and_b64 s[44:45], s[40:41], exec
                                        ; implicit-def: $vgpr7
; %bb.17:                               ;   in Loop: Header=BB20_14 Depth=3
	s_andn2_saveexec_b64 s[46:47], s[46:47]
	s_cbranch_execz .LBB20_12
; %bb.18:                               ;   in Loop: Header=BB20_14 Depth=3
	v_pk_mov_b32 v[12:13], -1, -1
	ds_cmpst_rtn_b64 v[12:13], v7, v[12:13], v[8:9]
	s_andn2_b64 s[50:51], s[0:1], exec
	s_andn2_b64 s[44:45], s[44:45], exec
	s_waitcnt lgkmcnt(0)
	v_cmp_eq_u64_e64 s[0:1], -1, v[12:13]
	v_cmp_ne_u64_e32 vcc, -1, v[12:13]
	s_or_b64 s[40:41], s[0:1], s[40:41]
	s_and_b64 s[0:1], vcc, exec
	s_and_b64 s[40:41], s[40:41], exec
	s_or_b64 s[0:1], s[50:51], s[0:1]
	s_or_b64 s[44:45], s[44:45], s[40:41]
	s_branch .LBB20_12
.LBB20_19:
	s_or_b64 exec, exec, s[24:25]
.LBB20_20:
	s_or_b64 exec, exec, s[20:21]
.LBB20_21:
	s_load_dword s0, s[4:5], 0x54
	s_waitcnt lgkmcnt(0)
	s_bfe_u32 s0, s0, 0x10008
	s_cmp_eq_u32 s0, 0
	s_cbranch_scc1 .LBB20_35
; %bb.22:
	s_lshl_b64 s[0:1], s[6:7], 2
	s_add_u32 s0, s12, s0
	s_addc_u32 s1, s13, s1
	s_load_dwordx2 s[0:1], s[0:1], 0x0
	v_subrev_u32_e32 v4, s18, v14
	s_waitcnt lgkmcnt(0)
	s_sub_i32 s19, s1, s18
	v_add_u32_e32 v4, s0, v4
	v_cmp_gt_i32_e32 vcc, s19, v4
	s_and_saveexec_b64 s[4:5], vcc
	s_cbranch_execz .LBB20_34
; %bb.23:
	s_mov_b32 s0, 0
	s_mov_b64 s[8:9], 0
	v_mov_b32_e32 v9, s15
	v_mov_b32_e32 v12, s0
	s_movk_i32 s15, 0x4f
	s_branch .LBB20_25
.LBB20_24:                              ;   in Loop: Header=BB20_25 Depth=1
	s_or_b64 exec, exec, s[20:21]
	v_add_u32_e32 v4, 16, v4
	v_cndmask_b32_e64 v5, 0, 1, s[10:11]
	v_cmp_le_i32_e32 vcc, s19, v4
	s_or_b64 s[8:9], vcc, s[8:9]
	v_add_co_u32_e32 v2, vcc, v2, v5
	v_addc_co_u32_e32 v3, vcc, 0, v3, vcc
	s_andn2_b64 exec, exec, s[8:9]
	s_cbranch_execz .LBB20_33
.LBB20_25:                              ; =>This Loop Header: Depth=1
                                        ;     Child Loop BB20_28 Depth 2
	v_ashrrev_i32_e32 v5, 31, v4
	v_lshlrev_b64 v[6:7], 3, v[4:5]
	v_add_co_u32_e32 v6, vcc, s14, v6
	v_addc_co_u32_e32 v7, vcc, v9, v7, vcc
	global_load_dwordx2 v[6:7], v[6:7], off
	s_mov_b64 s[20:21], 0
                                        ; implicit-def: $sgpr10_sgpr11
                                        ; implicit-def: $sgpr12_sgpr13
                                        ; implicit-def: $sgpr16_sgpr17
                                        ; implicit-def: $sgpr22_sgpr23
	s_waitcnt vmcnt(0)
	v_subrev_co_u32_e32 v6, vcc, s18, v6
	v_mul_lo_u32 v5, v6, s15
	v_subb_co_u32_e32 v7, vcc, v7, v12, vcc
	v_and_b32_e32 v8, 0x1ff, v5
	s_branch .LBB20_28
.LBB20_26:                              ;   in Loop: Header=BB20_28 Depth=2
	s_or_b64 exec, exec, s[28:29]
	s_andn2_b64 s[16:17], s[16:17], exec
	s_and_b64 s[22:23], s[26:27], exec
	s_andn2_b64 s[12:13], s[12:13], exec
	s_and_b64 s[0:1], s[0:1], exec
	s_or_b64 s[16:17], s[16:17], s[22:23]
	s_or_b64 s[12:13], s[12:13], s[0:1]
                                        ; implicit-def: $sgpr22_sgpr23
.LBB20_27:                              ;   in Loop: Header=BB20_28 Depth=2
	s_or_b64 exec, exec, s[24:25]
	s_xor_b64 s[0:1], s[12:13], -1
	s_and_b64 s[0:1], exec, s[0:1]
	s_or_b64 s[20:21], s[0:1], s[20:21]
	s_andn2_b64 s[0:1], s[22:23], exec
	s_and_b64 s[24:25], s[16:17], exec
	s_or_b64 s[22:23], s[0:1], s[24:25]
	s_andn2_b64 s[0:1], s[10:11], exec
	s_or_b64 s[10:11], s[0:1], s[24:25]
	s_andn2_b64 exec, exec, s[20:21]
	s_cbranch_execz .LBB20_24
.LBB20_28:                              ;   Parent Loop BB20_25 Depth=1
                                        ; =>  This Inner Loop Header: Depth=2
	v_lshl_add_u32 v5, v8, 3, 0
	ds_read_b64 v[10:11], v5
	s_andn2_b64 s[16:17], s[16:17], exec
	s_andn2_b64 s[12:13], s[12:13], exec
	s_waitcnt lgkmcnt(0)
	v_cmp_ne_u64_e32 vcc, v[10:11], v[6:7]
	s_and_saveexec_b64 s[24:25], vcc
	s_cbranch_execz .LBB20_27
; %bb.29:                               ;   in Loop: Header=BB20_28 Depth=2
	v_cmp_ne_u64_e32 vcc, -1, v[10:11]
                                        ; implicit-def: $sgpr26_sgpr27
                                        ; implicit-def: $sgpr0_sgpr1
	s_and_saveexec_b64 s[28:29], vcc
	s_xor_b64 s[28:29], exec, s[28:29]
; %bb.30:                               ;   in Loop: Header=BB20_28 Depth=2
	v_add_u32_e32 v5, 1, v8
	v_and_b32_e32 v8, 0x1ff, v5
	s_mov_b64 s[0:1], -1
	s_and_b64 s[26:27], s[22:23], exec
                                        ; implicit-def: $vgpr5
; %bb.31:                               ;   in Loop: Header=BB20_28 Depth=2
	s_andn2_saveexec_b64 s[28:29], s[28:29]
	s_cbranch_execz .LBB20_26
; %bb.32:                               ;   in Loop: Header=BB20_28 Depth=2
	v_pk_mov_b32 v[10:11], -1, -1
	ds_cmpst_rtn_b64 v[10:11], v5, v[10:11], v[6:7]
	s_andn2_b64 s[30:31], s[0:1], exec
	s_andn2_b64 s[26:27], s[26:27], exec
	s_waitcnt lgkmcnt(0)
	v_cmp_eq_u64_e64 s[0:1], -1, v[10:11]
	v_cmp_ne_u64_e32 vcc, -1, v[10:11]
	s_or_b64 s[22:23], s[0:1], s[22:23]
	s_and_b64 s[0:1], vcc, exec
	s_and_b64 s[22:23], s[22:23], exec
	s_or_b64 s[0:1], s[30:31], s[0:1]
	s_or_b64 s[26:27], s[26:27], s[22:23]
	s_branch .LBB20_26
.LBB20_33:
	s_or_b64 exec, exec, s[8:9]
.LBB20_34:
	s_or_b64 exec, exec, s[4:5]
.LBB20_35:
	v_mov_b32_dpp v4, v2 row_shr:1 row_mask:0xf bank_mask:0xf
	v_add_co_u32_e32 v2, vcc, v2, v4
	v_mov_b32_dpp v5, v3 row_shr:1 row_mask:0xf bank_mask:0xf
	v_addc_co_u32_e32 v3, vcc, 0, v3, vcc
	v_add_co_u32_e32 v4, vcc, 0, v2
	v_addc_co_u32_e32 v3, vcc, v5, v3, vcc
	v_mov_b32_dpp v2, v2 row_shr:2 row_mask:0xf bank_mask:0xf
	v_add_co_u32_e32 v4, vcc, v4, v2
	v_mov_b32_dpp v5, v3 row_shr:2 row_mask:0xf bank_mask:0xf
	v_addc_co_u32_e32 v3, vcc, 0, v3, vcc
	v_add_co_u32_e32 v2, vcc, 0, v4
	v_addc_co_u32_e32 v3, vcc, v3, v5, vcc
	v_mov_b32_dpp v4, v4 row_shr:4 row_mask:0xf bank_mask:0xe
	s_nop 0
	v_mov_b32_dpp v5, v3 row_shr:4 row_mask:0xf bank_mask:0xe
	v_cmp_eq_u32_e32 vcc, 7, v15
	s_barrier
	s_and_saveexec_b64 s[0:1], vcc
	s_cbranch_execz .LBB20_37
; %bb.36:
	v_add_co_u32_e32 v2, vcc, v4, v2
	v_lshl_add_u32 v6, v14, 3, 0
	v_addc_co_u32_e32 v3, vcc, v5, v3, vcc
	ds_write_b64 v6, v[2:3]
.LBB20_37:
	s_or_b64 exec, exec, s[0:1]
	v_cmp_gt_u32_e32 vcc, 16, v0
	v_pk_mov_b32 v[2:3], 0, 0
	s_waitcnt lgkmcnt(0)
	s_barrier
	s_and_saveexec_b64 s[0:1], vcc
	s_cbranch_execz .LBB20_39
; %bb.38:
	ds_read_b64 v[2:3], v1
.LBB20_39:
	s_or_b64 exec, exec, s[0:1]
	s_waitcnt lgkmcnt(0)
	v_mov_b32_dpp v1, v2 row_shr:1 row_mask:0xf bank_mask:0xf
	v_add_u32_e32 v1, v2, v1
	v_cmp_eq_u32_e32 vcc, 15, v0
	s_nop 0
	v_mov_b32_dpp v2, v1 row_shr:2 row_mask:0xf bank_mask:0xf
	v_add_u32_e32 v1, v1, v2
	s_nop 1
	v_mov_b32_dpp v2, v1 row_shr:4 row_mask:0xf bank_mask:0xe
	v_add_u32_e32 v1, v2, v1
	s_nop 1
	v_mov_b32_dpp v2, v1 row_shr:8 row_mask:0xf bank_mask:0xc
	s_and_saveexec_b64 s[0:1], vcc
	s_cbranch_execz .LBB20_41
; %bb.40:
	s_lshl_b64 s[0:1], s[6:7], 2
	s_add_u32 s0, s2, s0
	s_addc_u32 s1, s3, s1
	v_mov_b32_e32 v0, 0
	v_add_u32_e32 v1, v2, v1
	global_store_dword v0, v1, s[0:1]
.LBB20_41:
	s_endpgm
	.section	.rodata,"a",@progbits
	.p2align	6, 0x0
	.amdhsa_kernel _ZN9rocsparseL25csrgemm_nnz_block_per_rowILj128ELj8ELj512ELj79EilEEvPKT4_S3_PKT3_S3_S6_S3_S6_S3_PS4_21rocsparse_index_base_S8_S8_bb
		.amdhsa_group_segment_fixed_size 0
		.amdhsa_private_segment_fixed_size 0
		.amdhsa_kernarg_size 88
		.amdhsa_user_sgpr_count 6
		.amdhsa_user_sgpr_private_segment_buffer 1
		.amdhsa_user_sgpr_dispatch_ptr 0
		.amdhsa_user_sgpr_queue_ptr 0
		.amdhsa_user_sgpr_kernarg_segment_ptr 1
		.amdhsa_user_sgpr_dispatch_id 0
		.amdhsa_user_sgpr_flat_scratch_init 0
		.amdhsa_user_sgpr_kernarg_preload_length 0
		.amdhsa_user_sgpr_kernarg_preload_offset 0
		.amdhsa_user_sgpr_private_segment_size 0
		.amdhsa_uses_dynamic_stack 0
		.amdhsa_system_sgpr_private_segment_wavefront_offset 0
		.amdhsa_system_sgpr_workgroup_id_x 1
		.amdhsa_system_sgpr_workgroup_id_y 0
		.amdhsa_system_sgpr_workgroup_id_z 0
		.amdhsa_system_sgpr_workgroup_info 0
		.amdhsa_system_vgpr_workitem_id 0
		.amdhsa_next_free_vgpr 19
		.amdhsa_next_free_sgpr 52
		.amdhsa_accum_offset 20
		.amdhsa_reserve_vcc 1
		.amdhsa_reserve_flat_scratch 0
		.amdhsa_float_round_mode_32 0
		.amdhsa_float_round_mode_16_64 0
		.amdhsa_float_denorm_mode_32 3
		.amdhsa_float_denorm_mode_16_64 3
		.amdhsa_dx10_clamp 1
		.amdhsa_ieee_mode 1
		.amdhsa_fp16_overflow 0
		.amdhsa_tg_split 0
		.amdhsa_exception_fp_ieee_invalid_op 0
		.amdhsa_exception_fp_denorm_src 0
		.amdhsa_exception_fp_ieee_div_zero 0
		.amdhsa_exception_fp_ieee_overflow 0
		.amdhsa_exception_fp_ieee_underflow 0
		.amdhsa_exception_fp_ieee_inexact 0
		.amdhsa_exception_int_div_zero 0
	.end_amdhsa_kernel
	.section	.text._ZN9rocsparseL25csrgemm_nnz_block_per_rowILj128ELj8ELj512ELj79EilEEvPKT4_S3_PKT3_S3_S6_S3_S6_S3_PS4_21rocsparse_index_base_S8_S8_bb,"axG",@progbits,_ZN9rocsparseL25csrgemm_nnz_block_per_rowILj128ELj8ELj512ELj79EilEEvPKT4_S3_PKT3_S3_S6_S3_S6_S3_PS4_21rocsparse_index_base_S8_S8_bb,comdat
.Lfunc_end20:
	.size	_ZN9rocsparseL25csrgemm_nnz_block_per_rowILj128ELj8ELj512ELj79EilEEvPKT4_S3_PKT3_S3_S6_S3_S6_S3_PS4_21rocsparse_index_base_S8_S8_bb, .Lfunc_end20-_ZN9rocsparseL25csrgemm_nnz_block_per_rowILj128ELj8ELj512ELj79EilEEvPKT4_S3_PKT3_S3_S6_S3_S6_S3_PS4_21rocsparse_index_base_S8_S8_bb
                                        ; -- End function
	.section	.AMDGPU.csdata,"",@progbits
; Kernel info:
; codeLenInByte = 1484
; NumSgprs: 56
; NumVgprs: 19
; NumAgprs: 0
; TotalNumVgprs: 19
; ScratchSize: 0
; MemoryBound: 0
; FloatMode: 240
; IeeeMode: 1
; LDSByteSize: 0 bytes/workgroup (compile time only)
; SGPRBlocks: 6
; VGPRBlocks: 2
; NumSGPRsForWavesPerEU: 56
; NumVGPRsForWavesPerEU: 19
; AccumOffset: 20
; Occupancy: 8
; WaveLimiterHint : 1
; COMPUTE_PGM_RSRC2:SCRATCH_EN: 0
; COMPUTE_PGM_RSRC2:USER_SGPR: 6
; COMPUTE_PGM_RSRC2:TRAP_HANDLER: 0
; COMPUTE_PGM_RSRC2:TGID_X_EN: 1
; COMPUTE_PGM_RSRC2:TGID_Y_EN: 0
; COMPUTE_PGM_RSRC2:TGID_Z_EN: 0
; COMPUTE_PGM_RSRC2:TIDIG_COMP_CNT: 0
; COMPUTE_PGM_RSRC3_GFX90A:ACCUM_OFFSET: 4
; COMPUTE_PGM_RSRC3_GFX90A:TG_SPLIT: 0
	.section	.text._ZN9rocsparseL25csrgemm_nnz_block_per_rowILj128ELj8ELj1024ELj79EilEEvPKT4_S3_PKT3_S3_S6_S3_S6_S3_PS4_21rocsparse_index_base_S8_S8_bb,"axG",@progbits,_ZN9rocsparseL25csrgemm_nnz_block_per_rowILj128ELj8ELj1024ELj79EilEEvPKT4_S3_PKT3_S3_S6_S3_S6_S3_PS4_21rocsparse_index_base_S8_S8_bb,comdat
	.globl	_ZN9rocsparseL25csrgemm_nnz_block_per_rowILj128ELj8ELj1024ELj79EilEEvPKT4_S3_PKT3_S3_S6_S3_S6_S3_PS4_21rocsparse_index_base_S8_S8_bb ; -- Begin function _ZN9rocsparseL25csrgemm_nnz_block_per_rowILj128ELj8ELj1024ELj79EilEEvPKT4_S3_PKT3_S3_S6_S3_S6_S3_PS4_21rocsparse_index_base_S8_S8_bb
	.p2align	8
	.type	_ZN9rocsparseL25csrgemm_nnz_block_per_rowILj128ELj8ELj1024ELj79EilEEvPKT4_S3_PKT3_S3_S6_S3_S6_S3_PS4_21rocsparse_index_base_S8_S8_bb,@function
_ZN9rocsparseL25csrgemm_nnz_block_per_rowILj128ELj8ELj1024ELj79EilEEvPKT4_S3_PKT3_S3_S6_S3_S6_S3_PS4_21rocsparse_index_base_S8_S8_bb: ; @_ZN9rocsparseL25csrgemm_nnz_block_per_rowILj128ELj8ELj1024ELj79EilEEvPKT4_S3_PKT3_S3_S6_S3_S6_S3_PS4_21rocsparse_index_base_S8_S8_bb
; %bb.0:
	s_load_dwordx4 s[0:3], s[4:5], 0x0
	s_mov_b32 s7, 0
	v_mov_b32_e32 v2, -1
	v_lshl_add_u32 v1, v0, 3, 0
	v_mov_b32_e32 v3, v2
	s_waitcnt lgkmcnt(0)
	s_load_dwordx2 s[0:1], s[0:1], 0x0
	ds_write_b64 v1, v[2:3]
	s_waitcnt lgkmcnt(0)
	s_lshl_b64 s[0:1], s[0:1], 3
	s_add_u32 s2, s2, s0
	s_addc_u32 s3, s3, s1
	s_lshl_b64 s[0:1], s[6:7], 3
	s_add_u32 s0, s2, s0
	s_addc_u32 s1, s3, s1
	s_load_dwordx2 s[2:3], s[0:1], 0x0
	s_movk_i32 s0, 0x380
	v_cmp_gt_u32_e32 vcc, s0, v0
	s_and_saveexec_b64 s[0:1], vcc
	s_cbranch_execz .LBB21_8
; %bb.1:
	s_movk_i32 s6, 0x300
	v_cmp_gt_u32_e32 vcc, s6, v0
	ds_write_b64 v1, v[2:3] offset:1024
	s_and_saveexec_b64 s[6:7], vcc
	s_xor_b64 s[6:7], exec, s[6:7]
	s_cbranch_execz .LBB21_8
; %bb.2:
	v_mov_b32_e32 v2, -1
	s_movk_i32 s6, 0x280
	v_mov_b32_e32 v3, v2
	v_cmp_gt_u32_e32 vcc, s6, v0
	ds_write_b64 v1, v[2:3] offset:2048
	s_and_saveexec_b64 s[6:7], vcc
	s_xor_b64 s[6:7], exec, s[6:7]
	s_cbranch_execz .LBB21_8
; %bb.3:
	s_movk_i32 s6, 0x200
	v_cmp_gt_u32_e32 vcc, s6, v0
	ds_write_b64 v1, v[2:3] offset:3072
	s_and_saveexec_b64 s[6:7], vcc
	s_xor_b64 s[6:7], exec, s[6:7]
	s_cbranch_execz .LBB21_8
; %bb.4:
	v_mov_b32_e32 v2, -1
	s_movk_i32 s6, 0x180
	v_mov_b32_e32 v3, v2
	v_cmp_gt_u32_e32 vcc, s6, v0
	ds_write_b64 v1, v[2:3] offset:4096
	s_and_saveexec_b64 s[6:7], vcc
	s_xor_b64 s[6:7], exec, s[6:7]
	;; [unrolled: 16-line block ×3, first 2 shown]
	s_cbranch_execz .LBB21_8
; %bb.7:
	ds_write_b64 v1, v[2:3] offset:7168
.LBB21_8:
	s_or_b64 exec, exec, s[0:1]
	s_load_dwordx4 s[8:11], s[4:5], 0x48
	v_and_b32_e32 v15, 7, v0
	v_lshrrev_b32_e32 v14, 3, v0
	v_pk_mov_b32 v[2:3], 0, 0
	s_waitcnt lgkmcnt(0)
	s_bitcmp1_b32 s11, 0
	s_cselect_b64 s[0:1], -1, 0
	s_and_b64 vcc, exec, s[0:1]
	s_barrier
	s_cbranch_vccz .LBB21_26
; %bb.9:
	s_load_dwordx2 s[0:1], s[4:5], 0x10
	s_lshl_b64 s[6:7], s[2:3], 2
	v_subrev_u32_e32 v2, s8, v14
	s_waitcnt lgkmcnt(0)
	s_add_u32 s0, s0, s6
	s_addc_u32 s1, s1, s7
	s_load_dwordx2 s[0:1], s[0:1], 0x0
	s_waitcnt lgkmcnt(0)
	s_sub_i32 s11, s1, s8
	v_add_u32_e32 v4, s0, v2
	v_cmp_gt_i32_e32 vcc, s11, v4
	v_pk_mov_b32 v[2:3], 0, 0
	s_and_saveexec_b64 s[6:7], vcc
	s_cbranch_execz .LBB21_25
; %bb.10:
	s_load_dwordx4 s[12:15], s[4:5], 0x18
	s_load_dwordx2 s[16:17], s[4:5], 0x28
	s_mov_b32 s0, 0
	v_subrev_u32_e32 v11, s9, v15
	s_mov_b32 s33, s9
	s_mov_b32 s42, s0
	s_mov_b64 s[18:19], 0
	v_pk_mov_b32 v[2:3], 0, 0
	s_waitcnt lgkmcnt(0)
	v_mov_b32_e32 v16, s13
	v_mov_b32_e32 v17, s0
	;; [unrolled: 1-line block ×3, first 2 shown]
	s_movk_i32 s13, 0x4f
	s_branch .LBB21_13
.LBB21_11:                              ;   in Loop: Header=BB21_13 Depth=1
	s_or_b64 exec, exec, s[22:23]
.LBB21_12:                              ;   in Loop: Header=BB21_13 Depth=1
	s_or_b64 exec, exec, s[20:21]
	v_add_u32_e32 v4, 16, v4
	v_cmp_le_i32_e32 vcc, s11, v4
	s_or_b64 s[18:19], vcc, s[18:19]
	s_andn2_b64 exec, exec, s[18:19]
	s_cbranch_execz .LBB21_24
.LBB21_13:                              ; =>This Loop Header: Depth=1
                                        ;     Child Loop BB21_16 Depth 2
                                        ;       Child Loop BB21_19 Depth 3
	v_ashrrev_i32_e32 v5, 31, v4
	v_lshlrev_b64 v[6:7], 3, v[4:5]
	v_add_co_u32_e32 v6, vcc, s12, v6
	v_addc_co_u32_e32 v7, vcc, v16, v7, vcc
	global_load_dwordx2 v[6:7], v[6:7], off
	s_waitcnt vmcnt(0)
	v_subrev_co_u32_e32 v6, vcc, s8, v6
	v_subb_co_u32_e32 v7, vcc, v7, v17, vcc
	v_lshlrev_b64 v[6:7], 2, v[6:7]
	v_add_co_u32_e32 v6, vcc, s14, v6
	v_addc_co_u32_e32 v7, vcc, v18, v7, vcc
	global_load_dwordx2 v[6:7], v[6:7], off
	s_waitcnt vmcnt(0)
	v_subrev_u32_e32 v5, s9, v7
	v_add_u32_e32 v6, v11, v6
	v_cmp_lt_i32_e32 vcc, v6, v5
	s_and_saveexec_b64 s[20:21], vcc
	s_cbranch_execz .LBB21_12
; %bb.14:                               ;   in Loop: Header=BB21_13 Depth=1
	s_mov_b64 s[22:23], 0
	s_branch .LBB21_16
.LBB21_15:                              ;   in Loop: Header=BB21_16 Depth=2
	s_or_b64 exec, exec, s[30:31]
	v_add_u32_e32 v6, 8, v6
	v_cndmask_b32_e64 v7, 0, 1, s[24:25]
	v_cmp_ge_i32_e32 vcc, v6, v5
	s_or_b64 s[22:23], vcc, s[22:23]
	v_add_co_u32_e32 v2, vcc, v2, v7
	v_addc_co_u32_e32 v3, vcc, 0, v3, vcc
	s_andn2_b64 exec, exec, s[22:23]
	s_cbranch_execz .LBB21_11
.LBB21_16:                              ;   Parent Loop BB21_13 Depth=1
                                        ; =>  This Loop Header: Depth=2
                                        ;       Child Loop BB21_19 Depth 3
	v_ashrrev_i32_e32 v7, 31, v6
	v_lshlrev_b64 v[8:9], 3, v[6:7]
	v_mov_b32_e32 v7, s17
	v_add_co_u32_e32 v8, vcc, s16, v8
	v_addc_co_u32_e32 v9, vcc, v7, v9, vcc
	global_load_dwordx2 v[8:9], v[8:9], off
	v_mov_b32_e32 v7, s42
	s_mov_b64 s[30:31], 0
                                        ; implicit-def: $sgpr24_sgpr25
                                        ; implicit-def: $sgpr26_sgpr27
                                        ; implicit-def: $sgpr28_sgpr29
                                        ; implicit-def: $sgpr34_sgpr35
	s_waitcnt vmcnt(0)
	v_subrev_co_u32_e32 v8, vcc, s33, v8
	v_subb_co_u32_e32 v9, vcc, v9, v7, vcc
	v_mul_lo_u32 v7, v8, s13
	v_and_b32_e32 v10, 0x3ff, v7
	s_branch .LBB21_19
.LBB21_17:                              ;   in Loop: Header=BB21_19 Depth=3
	s_or_b64 exec, exec, s[40:41]
	s_andn2_b64 s[28:29], s[28:29], exec
	s_and_b64 s[34:35], s[38:39], exec
	s_andn2_b64 s[26:27], s[26:27], exec
	s_and_b64 s[0:1], s[0:1], exec
	s_or_b64 s[28:29], s[28:29], s[34:35]
	s_or_b64 s[26:27], s[26:27], s[0:1]
                                        ; implicit-def: $sgpr34_sgpr35
.LBB21_18:                              ;   in Loop: Header=BB21_19 Depth=3
	s_or_b64 exec, exec, s[36:37]
	s_xor_b64 s[0:1], s[26:27], -1
	s_and_b64 s[0:1], exec, s[0:1]
	s_or_b64 s[30:31], s[0:1], s[30:31]
	s_andn2_b64 s[0:1], s[34:35], exec
	s_and_b64 s[36:37], s[28:29], exec
	s_or_b64 s[34:35], s[0:1], s[36:37]
	s_andn2_b64 s[0:1], s[24:25], exec
	s_or_b64 s[24:25], s[0:1], s[36:37]
	s_andn2_b64 exec, exec, s[30:31]
	s_cbranch_execz .LBB21_15
.LBB21_19:                              ;   Parent Loop BB21_13 Depth=1
                                        ;     Parent Loop BB21_16 Depth=2
                                        ; =>    This Inner Loop Header: Depth=3
	v_lshl_add_u32 v7, v10, 3, 0
	ds_read_b64 v[12:13], v7
	s_andn2_b64 s[28:29], s[28:29], exec
	s_andn2_b64 s[26:27], s[26:27], exec
	s_waitcnt lgkmcnt(0)
	v_cmp_ne_u64_e32 vcc, v[12:13], v[8:9]
	s_and_saveexec_b64 s[36:37], vcc
	s_cbranch_execz .LBB21_18
; %bb.20:                               ;   in Loop: Header=BB21_19 Depth=3
	v_cmp_ne_u64_e32 vcc, -1, v[12:13]
                                        ; implicit-def: $sgpr38_sgpr39
                                        ; implicit-def: $sgpr0_sgpr1
	s_and_saveexec_b64 s[40:41], vcc
	s_xor_b64 s[40:41], exec, s[40:41]
; %bb.21:                               ;   in Loop: Header=BB21_19 Depth=3
	v_add_u32_e32 v7, 1, v10
	v_and_b32_e32 v10, 0x3ff, v7
	s_mov_b64 s[0:1], -1
	s_and_b64 s[38:39], s[34:35], exec
                                        ; implicit-def: $vgpr7
; %bb.22:                               ;   in Loop: Header=BB21_19 Depth=3
	s_andn2_saveexec_b64 s[40:41], s[40:41]
	s_cbranch_execz .LBB21_17
; %bb.23:                               ;   in Loop: Header=BB21_19 Depth=3
	v_pk_mov_b32 v[12:13], -1, -1
	ds_cmpst_rtn_b64 v[12:13], v7, v[12:13], v[8:9]
	s_andn2_b64 s[44:45], s[0:1], exec
	s_andn2_b64 s[38:39], s[38:39], exec
	s_waitcnt lgkmcnt(0)
	v_cmp_eq_u64_e64 s[0:1], -1, v[12:13]
	v_cmp_ne_u64_e32 vcc, -1, v[12:13]
	s_or_b64 s[34:35], s[0:1], s[34:35]
	s_and_b64 s[0:1], vcc, exec
	s_and_b64 s[34:35], s[34:35], exec
	s_or_b64 s[0:1], s[44:45], s[0:1]
	s_or_b64 s[38:39], s[38:39], s[34:35]
	s_branch .LBB21_17
.LBB21_24:
	s_or_b64 exec, exec, s[18:19]
.LBB21_25:
	s_or_b64 exec, exec, s[6:7]
.LBB21_26:
	s_load_dword s0, s[4:5], 0x54
	s_waitcnt lgkmcnt(0)
	s_bfe_u32 s0, s0, 0x10008
	s_cmp_eq_u32 s0, 0
	s_cbranch_scc1 .LBB21_40
; %bb.27:
	s_load_dwordx2 s[0:1], s[4:5], 0x30
	s_lshl_b64 s[6:7], s[2:3], 2
	v_subrev_u32_e32 v4, s10, v14
	s_waitcnt lgkmcnt(0)
	s_add_u32 s0, s0, s6
	s_addc_u32 s1, s1, s7
	s_load_dwordx2 s[0:1], s[0:1], 0x0
	s_waitcnt lgkmcnt(0)
	s_sub_i32 s11, s1, s10
	v_add_u32_e32 v4, s0, v4
	v_cmp_gt_i32_e32 vcc, s11, v4
	s_and_saveexec_b64 s[6:7], vcc
	s_cbranch_execz .LBB21_39
; %bb.28:
	s_load_dwordx2 s[8:9], s[4:5], 0x38
	s_mov_b32 s0, 0
	s_mov_b64 s[12:13], 0
	v_mov_b32_e32 v9, s0
	s_waitcnt lgkmcnt(0)
	v_mov_b32_e32 v12, s9
	s_movk_i32 s9, 0x4f
	s_branch .LBB21_30
.LBB21_29:                              ;   in Loop: Header=BB21_30 Depth=1
	s_or_b64 exec, exec, s[20:21]
	v_add_u32_e32 v4, 16, v4
	v_cndmask_b32_e64 v5, 0, 1, s[14:15]
	v_cmp_le_i32_e32 vcc, s11, v4
	s_or_b64 s[12:13], vcc, s[12:13]
	v_add_co_u32_e32 v2, vcc, v2, v5
	v_addc_co_u32_e32 v3, vcc, 0, v3, vcc
	s_andn2_b64 exec, exec, s[12:13]
	s_cbranch_execz .LBB21_38
.LBB21_30:                              ; =>This Loop Header: Depth=1
                                        ;     Child Loop BB21_33 Depth 2
	v_ashrrev_i32_e32 v5, 31, v4
	v_lshlrev_b64 v[6:7], 3, v[4:5]
	v_add_co_u32_e32 v6, vcc, s8, v6
	v_addc_co_u32_e32 v7, vcc, v12, v7, vcc
	global_load_dwordx2 v[6:7], v[6:7], off
	s_mov_b64 s[20:21], 0
                                        ; implicit-def: $sgpr14_sgpr15
                                        ; implicit-def: $sgpr16_sgpr17
                                        ; implicit-def: $sgpr18_sgpr19
                                        ; implicit-def: $sgpr22_sgpr23
	s_waitcnt vmcnt(0)
	v_subrev_co_u32_e32 v6, vcc, s10, v6
	v_mul_lo_u32 v5, v6, s9
	v_subb_co_u32_e32 v7, vcc, v7, v9, vcc
	v_and_b32_e32 v8, 0x3ff, v5
	s_branch .LBB21_33
.LBB21_31:                              ;   in Loop: Header=BB21_33 Depth=2
	s_or_b64 exec, exec, s[28:29]
	s_andn2_b64 s[18:19], s[18:19], exec
	s_and_b64 s[22:23], s[26:27], exec
	s_andn2_b64 s[16:17], s[16:17], exec
	s_and_b64 s[0:1], s[0:1], exec
	s_or_b64 s[18:19], s[18:19], s[22:23]
	s_or_b64 s[16:17], s[16:17], s[0:1]
                                        ; implicit-def: $sgpr22_sgpr23
.LBB21_32:                              ;   in Loop: Header=BB21_33 Depth=2
	s_or_b64 exec, exec, s[24:25]
	s_xor_b64 s[0:1], s[16:17], -1
	s_and_b64 s[0:1], exec, s[0:1]
	s_or_b64 s[20:21], s[0:1], s[20:21]
	s_andn2_b64 s[0:1], s[22:23], exec
	s_and_b64 s[24:25], s[18:19], exec
	s_or_b64 s[22:23], s[0:1], s[24:25]
	s_andn2_b64 s[0:1], s[14:15], exec
	s_or_b64 s[14:15], s[0:1], s[24:25]
	s_andn2_b64 exec, exec, s[20:21]
	s_cbranch_execz .LBB21_29
.LBB21_33:                              ;   Parent Loop BB21_30 Depth=1
                                        ; =>  This Inner Loop Header: Depth=2
	v_lshl_add_u32 v5, v8, 3, 0
	ds_read_b64 v[10:11], v5
	s_andn2_b64 s[18:19], s[18:19], exec
	s_andn2_b64 s[16:17], s[16:17], exec
	s_waitcnt lgkmcnt(0)
	v_cmp_ne_u64_e32 vcc, v[10:11], v[6:7]
	s_and_saveexec_b64 s[24:25], vcc
	s_cbranch_execz .LBB21_32
; %bb.34:                               ;   in Loop: Header=BB21_33 Depth=2
	v_cmp_ne_u64_e32 vcc, -1, v[10:11]
                                        ; implicit-def: $sgpr26_sgpr27
                                        ; implicit-def: $sgpr0_sgpr1
	s_and_saveexec_b64 s[28:29], vcc
	s_xor_b64 s[28:29], exec, s[28:29]
; %bb.35:                               ;   in Loop: Header=BB21_33 Depth=2
	v_add_u32_e32 v5, 1, v8
	v_and_b32_e32 v8, 0x3ff, v5
	s_mov_b64 s[0:1], -1
	s_and_b64 s[26:27], s[22:23], exec
                                        ; implicit-def: $vgpr5
; %bb.36:                               ;   in Loop: Header=BB21_33 Depth=2
	s_andn2_saveexec_b64 s[28:29], s[28:29]
	s_cbranch_execz .LBB21_31
; %bb.37:                               ;   in Loop: Header=BB21_33 Depth=2
	v_pk_mov_b32 v[10:11], -1, -1
	ds_cmpst_rtn_b64 v[10:11], v5, v[10:11], v[6:7]
	s_andn2_b64 s[30:31], s[0:1], exec
	s_andn2_b64 s[26:27], s[26:27], exec
	s_waitcnt lgkmcnt(0)
	v_cmp_eq_u64_e64 s[0:1], -1, v[10:11]
	v_cmp_ne_u64_e32 vcc, -1, v[10:11]
	s_or_b64 s[22:23], s[0:1], s[22:23]
	s_and_b64 s[0:1], vcc, exec
	s_and_b64 s[22:23], s[22:23], exec
	s_or_b64 s[0:1], s[30:31], s[0:1]
	s_or_b64 s[26:27], s[26:27], s[22:23]
	s_branch .LBB21_31
.LBB21_38:
	s_or_b64 exec, exec, s[12:13]
.LBB21_39:
	s_or_b64 exec, exec, s[6:7]
.LBB21_40:
	v_mov_b32_dpp v4, v2 row_shr:1 row_mask:0xf bank_mask:0xf
	v_add_co_u32_e32 v2, vcc, v2, v4
	v_mov_b32_dpp v5, v3 row_shr:1 row_mask:0xf bank_mask:0xf
	v_addc_co_u32_e32 v3, vcc, 0, v3, vcc
	v_add_co_u32_e32 v4, vcc, 0, v2
	v_addc_co_u32_e32 v3, vcc, v5, v3, vcc
	v_mov_b32_dpp v2, v2 row_shr:2 row_mask:0xf bank_mask:0xf
	v_add_co_u32_e32 v4, vcc, v4, v2
	v_mov_b32_dpp v5, v3 row_shr:2 row_mask:0xf bank_mask:0xf
	v_addc_co_u32_e32 v3, vcc, 0, v3, vcc
	v_add_co_u32_e32 v2, vcc, 0, v4
	v_addc_co_u32_e32 v3, vcc, v3, v5, vcc
	v_mov_b32_dpp v4, v4 row_shr:4 row_mask:0xf bank_mask:0xe
	s_nop 0
	v_mov_b32_dpp v5, v3 row_shr:4 row_mask:0xf bank_mask:0xe
	v_cmp_eq_u32_e32 vcc, 7, v15
	s_barrier
	s_and_saveexec_b64 s[0:1], vcc
	s_cbranch_execz .LBB21_42
; %bb.41:
	v_add_co_u32_e32 v2, vcc, v4, v2
	v_lshl_add_u32 v6, v14, 3, 0
	v_addc_co_u32_e32 v3, vcc, v5, v3, vcc
	ds_write_b64 v6, v[2:3]
.LBB21_42:
	s_or_b64 exec, exec, s[0:1]
	v_cmp_gt_u32_e32 vcc, 16, v0
	v_pk_mov_b32 v[2:3], 0, 0
	s_waitcnt lgkmcnt(0)
	s_barrier
	s_and_saveexec_b64 s[0:1], vcc
	s_cbranch_execz .LBB21_44
; %bb.43:
	ds_read_b64 v[2:3], v1
.LBB21_44:
	s_or_b64 exec, exec, s[0:1]
	s_waitcnt lgkmcnt(0)
	v_mov_b32_dpp v1, v2 row_shr:1 row_mask:0xf bank_mask:0xf
	v_add_u32_e32 v1, v2, v1
	v_cmp_eq_u32_e32 vcc, 15, v0
	s_nop 0
	v_mov_b32_dpp v2, v1 row_shr:2 row_mask:0xf bank_mask:0xf
	v_add_u32_e32 v1, v1, v2
	s_nop 1
	v_mov_b32_dpp v2, v1 row_shr:4 row_mask:0xf bank_mask:0xe
	v_add_u32_e32 v1, v2, v1
	s_nop 1
	v_mov_b32_dpp v2, v1 row_shr:8 row_mask:0xf bank_mask:0xc
	s_and_saveexec_b64 s[0:1], vcc
	s_cbranch_execz .LBB21_46
; %bb.45:
	s_load_dwordx2 s[0:1], s[4:5], 0x40
	s_lshl_b64 s[2:3], s[2:3], 2
	v_mov_b32_e32 v0, 0
	v_add_u32_e32 v1, v2, v1
	s_waitcnt lgkmcnt(0)
	s_add_u32 s0, s0, s2
	s_addc_u32 s1, s1, s3
	global_store_dword v0, v1, s[0:1]
.LBB21_46:
	s_endpgm
	.section	.rodata,"a",@progbits
	.p2align	6, 0x0
	.amdhsa_kernel _ZN9rocsparseL25csrgemm_nnz_block_per_rowILj128ELj8ELj1024ELj79EilEEvPKT4_S3_PKT3_S3_S6_S3_S6_S3_PS4_21rocsparse_index_base_S8_S8_bb
		.amdhsa_group_segment_fixed_size 0
		.amdhsa_private_segment_fixed_size 0
		.amdhsa_kernarg_size 88
		.amdhsa_user_sgpr_count 6
		.amdhsa_user_sgpr_private_segment_buffer 1
		.amdhsa_user_sgpr_dispatch_ptr 0
		.amdhsa_user_sgpr_queue_ptr 0
		.amdhsa_user_sgpr_kernarg_segment_ptr 1
		.amdhsa_user_sgpr_dispatch_id 0
		.amdhsa_user_sgpr_flat_scratch_init 0
		.amdhsa_user_sgpr_kernarg_preload_length 0
		.amdhsa_user_sgpr_kernarg_preload_offset 0
		.amdhsa_user_sgpr_private_segment_size 0
		.amdhsa_uses_dynamic_stack 0
		.amdhsa_system_sgpr_private_segment_wavefront_offset 0
		.amdhsa_system_sgpr_workgroup_id_x 1
		.amdhsa_system_sgpr_workgroup_id_y 0
		.amdhsa_system_sgpr_workgroup_id_z 0
		.amdhsa_system_sgpr_workgroup_info 0
		.amdhsa_system_vgpr_workitem_id 0
		.amdhsa_next_free_vgpr 19
		.amdhsa_next_free_sgpr 46
		.amdhsa_accum_offset 20
		.amdhsa_reserve_vcc 1
		.amdhsa_reserve_flat_scratch 0
		.amdhsa_float_round_mode_32 0
		.amdhsa_float_round_mode_16_64 0
		.amdhsa_float_denorm_mode_32 3
		.amdhsa_float_denorm_mode_16_64 3
		.amdhsa_dx10_clamp 1
		.amdhsa_ieee_mode 1
		.amdhsa_fp16_overflow 0
		.amdhsa_tg_split 0
		.amdhsa_exception_fp_ieee_invalid_op 0
		.amdhsa_exception_fp_denorm_src 0
		.amdhsa_exception_fp_ieee_div_zero 0
		.amdhsa_exception_fp_ieee_overflow 0
		.amdhsa_exception_fp_ieee_underflow 0
		.amdhsa_exception_fp_ieee_inexact 0
		.amdhsa_exception_int_div_zero 0
	.end_amdhsa_kernel
	.section	.text._ZN9rocsparseL25csrgemm_nnz_block_per_rowILj128ELj8ELj1024ELj79EilEEvPKT4_S3_PKT3_S3_S6_S3_S6_S3_PS4_21rocsparse_index_base_S8_S8_bb,"axG",@progbits,_ZN9rocsparseL25csrgemm_nnz_block_per_rowILj128ELj8ELj1024ELj79EilEEvPKT4_S3_PKT3_S3_S6_S3_S6_S3_PS4_21rocsparse_index_base_S8_S8_bb,comdat
.Lfunc_end21:
	.size	_ZN9rocsparseL25csrgemm_nnz_block_per_rowILj128ELj8ELj1024ELj79EilEEvPKT4_S3_PKT3_S3_S6_S3_S6_S3_PS4_21rocsparse_index_base_S8_S8_bb, .Lfunc_end21-_ZN9rocsparseL25csrgemm_nnz_block_per_rowILj128ELj8ELj1024ELj79EilEEvPKT4_S3_PKT3_S3_S6_S3_S6_S3_PS4_21rocsparse_index_base_S8_S8_bb
                                        ; -- End function
	.section	.AMDGPU.csdata,"",@progbits
; Kernel info:
; codeLenInByte = 1684
; NumSgprs: 50
; NumVgprs: 19
; NumAgprs: 0
; TotalNumVgprs: 19
; ScratchSize: 0
; MemoryBound: 0
; FloatMode: 240
; IeeeMode: 1
; LDSByteSize: 0 bytes/workgroup (compile time only)
; SGPRBlocks: 6
; VGPRBlocks: 2
; NumSGPRsForWavesPerEU: 50
; NumVGPRsForWavesPerEU: 19
; AccumOffset: 20
; Occupancy: 8
; WaveLimiterHint : 1
; COMPUTE_PGM_RSRC2:SCRATCH_EN: 0
; COMPUTE_PGM_RSRC2:USER_SGPR: 6
; COMPUTE_PGM_RSRC2:TRAP_HANDLER: 0
; COMPUTE_PGM_RSRC2:TGID_X_EN: 1
; COMPUTE_PGM_RSRC2:TGID_Y_EN: 0
; COMPUTE_PGM_RSRC2:TGID_Z_EN: 0
; COMPUTE_PGM_RSRC2:TIDIG_COMP_CNT: 0
; COMPUTE_PGM_RSRC3_GFX90A:ACCUM_OFFSET: 4
; COMPUTE_PGM_RSRC3_GFX90A:TG_SPLIT: 0
	.section	.text._ZN9rocsparseL25csrgemm_nnz_block_per_rowILj256ELj16ELj2048ELj79EilEEvPKT4_S3_PKT3_S3_S6_S3_S6_S3_PS4_21rocsparse_index_base_S8_S8_bb,"axG",@progbits,_ZN9rocsparseL25csrgemm_nnz_block_per_rowILj256ELj16ELj2048ELj79EilEEvPKT4_S3_PKT3_S3_S6_S3_S6_S3_PS4_21rocsparse_index_base_S8_S8_bb,comdat
	.globl	_ZN9rocsparseL25csrgemm_nnz_block_per_rowILj256ELj16ELj2048ELj79EilEEvPKT4_S3_PKT3_S3_S6_S3_S6_S3_PS4_21rocsparse_index_base_S8_S8_bb ; -- Begin function _ZN9rocsparseL25csrgemm_nnz_block_per_rowILj256ELj16ELj2048ELj79EilEEvPKT4_S3_PKT3_S3_S6_S3_S6_S3_PS4_21rocsparse_index_base_S8_S8_bb
	.p2align	8
	.type	_ZN9rocsparseL25csrgemm_nnz_block_per_rowILj256ELj16ELj2048ELj79EilEEvPKT4_S3_PKT3_S3_S6_S3_S6_S3_PS4_21rocsparse_index_base_S8_S8_bb,@function
_ZN9rocsparseL25csrgemm_nnz_block_per_rowILj256ELj16ELj2048ELj79EilEEvPKT4_S3_PKT3_S3_S6_S3_S6_S3_PS4_21rocsparse_index_base_S8_S8_bb: ; @_ZN9rocsparseL25csrgemm_nnz_block_per_rowILj256ELj16ELj2048ELj79EilEEvPKT4_S3_PKT3_S3_S6_S3_S6_S3_PS4_21rocsparse_index_base_S8_S8_bb
; %bb.0:
	s_load_dwordx4 s[0:3], s[4:5], 0x0
	s_mov_b32 s7, 0
	s_mov_b32 s8, -1
	s_mov_b32 s9, s8
	v_or_b32_e32 v4, 0x400, v0
	s_waitcnt lgkmcnt(0)
	s_load_dwordx2 s[0:1], s[0:1], 0x0
	v_lshl_add_u32 v1, v0, 3, 0
	v_pk_mov_b32 v[2:3], s[8:9], s[8:9] op_sel:[0,1]
	s_waitcnt lgkmcnt(0)
	s_lshl_b64 s[0:1], s[0:1], 3
	s_add_u32 s2, s2, s0
	s_addc_u32 s3, s3, s1
	s_lshl_b64 s[0:1], s[6:7], 3
	s_add_u32 s0, s2, s0
	s_addc_u32 s1, s3, s1
	s_load_dwordx2 s[2:3], s[0:1], 0x0
	s_movk_i32 s0, 0x700
	v_cmp_gt_u32_e32 vcc, s0, v4
	ds_write2st64_b64 v1, v[2:3], v[2:3] offset1:4
	ds_write2st64_b64 v1, v[2:3], v[2:3] offset0:8 offset1:12
	ds_write_b64 v1, v[2:3] offset:8192
	s_and_saveexec_b64 s[0:1], vcc
	s_cbranch_execz .LBB22_4
; %bb.1:
	v_mov_b32_e32 v2, -1
	s_movk_i32 s6, 0x200
	v_mov_b32_e32 v3, v2
	v_cmp_gt_u32_e32 vcc, s6, v0
	ds_write_b64 v1, v[2:3] offset:10240
	s_and_saveexec_b64 s[6:7], vcc
	s_xor_b64 s[6:7], exec, s[6:7]
	s_cbranch_execz .LBB22_4
; %bb.2:
	s_movk_i32 s6, 0x100
	v_cmp_gt_u32_e32 vcc, s6, v0
	ds_write_b64 v1, v[2:3] offset:12288
	s_and_saveexec_b64 s[6:7], vcc
	s_xor_b64 s[6:7], exec, s[6:7]
	s_cbranch_execz .LBB22_4
; %bb.3:
	v_mov_b32_e32 v2, -1
	v_mov_b32_e32 v3, v2
	ds_write_b64 v1, v[2:3] offset:14336
.LBB22_4:
	s_or_b64 exec, exec, s[0:1]
	s_load_dwordx4 s[8:11], s[4:5], 0x48
	v_and_b32_e32 v15, 15, v0
	v_lshrrev_b32_e32 v14, 4, v0
	v_pk_mov_b32 v[2:3], 0, 0
	s_waitcnt lgkmcnt(0)
	s_bitcmp1_b32 s11, 0
	s_cselect_b64 s[0:1], -1, 0
	s_and_b64 vcc, exec, s[0:1]
	s_barrier
	s_cbranch_vccz .LBB22_22
; %bb.5:
	s_load_dwordx2 s[0:1], s[4:5], 0x10
	s_lshl_b64 s[6:7], s[2:3], 2
	v_subrev_u32_e32 v2, s8, v14
	s_waitcnt lgkmcnt(0)
	s_add_u32 s0, s0, s6
	s_addc_u32 s1, s1, s7
	s_load_dwordx2 s[0:1], s[0:1], 0x0
	s_waitcnt lgkmcnt(0)
	s_sub_i32 s11, s1, s8
	v_add_u32_e32 v4, s0, v2
	v_cmp_gt_i32_e32 vcc, s11, v4
	v_pk_mov_b32 v[2:3], 0, 0
	s_and_saveexec_b64 s[6:7], vcc
	s_cbranch_execz .LBB22_21
; %bb.6:
	s_load_dwordx4 s[12:15], s[4:5], 0x18
	s_load_dwordx2 s[16:17], s[4:5], 0x28
	s_mov_b32 s0, 0
	v_subrev_u32_e32 v11, s9, v15
	s_mov_b32 s33, s9
	s_mov_b32 s42, s0
	s_mov_b64 s[18:19], 0
	v_pk_mov_b32 v[2:3], 0, 0
	s_waitcnt lgkmcnt(0)
	v_mov_b32_e32 v16, s13
	v_mov_b32_e32 v17, s0
	;; [unrolled: 1-line block ×3, first 2 shown]
	s_movk_i32 s13, 0x4f
	s_branch .LBB22_9
.LBB22_7:                               ;   in Loop: Header=BB22_9 Depth=1
	s_or_b64 exec, exec, s[22:23]
.LBB22_8:                               ;   in Loop: Header=BB22_9 Depth=1
	s_or_b64 exec, exec, s[20:21]
	v_add_u32_e32 v4, 16, v4
	v_cmp_le_i32_e32 vcc, s11, v4
	s_or_b64 s[18:19], vcc, s[18:19]
	s_andn2_b64 exec, exec, s[18:19]
	s_cbranch_execz .LBB22_20
.LBB22_9:                               ; =>This Loop Header: Depth=1
                                        ;     Child Loop BB22_12 Depth 2
                                        ;       Child Loop BB22_15 Depth 3
	v_ashrrev_i32_e32 v5, 31, v4
	v_lshlrev_b64 v[6:7], 3, v[4:5]
	v_add_co_u32_e32 v6, vcc, s12, v6
	v_addc_co_u32_e32 v7, vcc, v16, v7, vcc
	global_load_dwordx2 v[6:7], v[6:7], off
	s_waitcnt vmcnt(0)
	v_subrev_co_u32_e32 v6, vcc, s8, v6
	v_subb_co_u32_e32 v7, vcc, v7, v17, vcc
	v_lshlrev_b64 v[6:7], 2, v[6:7]
	v_add_co_u32_e32 v6, vcc, s14, v6
	v_addc_co_u32_e32 v7, vcc, v18, v7, vcc
	global_load_dwordx2 v[6:7], v[6:7], off
	s_waitcnt vmcnt(0)
	v_subrev_u32_e32 v5, s9, v7
	v_add_u32_e32 v6, v11, v6
	v_cmp_lt_i32_e32 vcc, v6, v5
	s_and_saveexec_b64 s[20:21], vcc
	s_cbranch_execz .LBB22_8
; %bb.10:                               ;   in Loop: Header=BB22_9 Depth=1
	s_mov_b64 s[22:23], 0
	s_branch .LBB22_12
.LBB22_11:                              ;   in Loop: Header=BB22_12 Depth=2
	s_or_b64 exec, exec, s[30:31]
	v_add_u32_e32 v6, 16, v6
	v_cndmask_b32_e64 v7, 0, 1, s[24:25]
	v_cmp_ge_i32_e32 vcc, v6, v5
	s_or_b64 s[22:23], vcc, s[22:23]
	v_add_co_u32_e32 v2, vcc, v2, v7
	v_addc_co_u32_e32 v3, vcc, 0, v3, vcc
	s_andn2_b64 exec, exec, s[22:23]
	s_cbranch_execz .LBB22_7
.LBB22_12:                              ;   Parent Loop BB22_9 Depth=1
                                        ; =>  This Loop Header: Depth=2
                                        ;       Child Loop BB22_15 Depth 3
	v_ashrrev_i32_e32 v7, 31, v6
	v_lshlrev_b64 v[8:9], 3, v[6:7]
	v_mov_b32_e32 v7, s17
	v_add_co_u32_e32 v8, vcc, s16, v8
	v_addc_co_u32_e32 v9, vcc, v7, v9, vcc
	global_load_dwordx2 v[8:9], v[8:9], off
	v_mov_b32_e32 v7, s42
	s_mov_b64 s[30:31], 0
                                        ; implicit-def: $sgpr24_sgpr25
                                        ; implicit-def: $sgpr26_sgpr27
                                        ; implicit-def: $sgpr28_sgpr29
                                        ; implicit-def: $sgpr34_sgpr35
	s_waitcnt vmcnt(0)
	v_subrev_co_u32_e32 v8, vcc, s33, v8
	v_subb_co_u32_e32 v9, vcc, v9, v7, vcc
	v_mul_lo_u32 v7, v8, s13
	v_and_b32_e32 v10, 0x7ff, v7
	s_branch .LBB22_15
.LBB22_13:                              ;   in Loop: Header=BB22_15 Depth=3
	s_or_b64 exec, exec, s[40:41]
	s_andn2_b64 s[28:29], s[28:29], exec
	s_and_b64 s[34:35], s[38:39], exec
	s_andn2_b64 s[26:27], s[26:27], exec
	s_and_b64 s[0:1], s[0:1], exec
	s_or_b64 s[28:29], s[28:29], s[34:35]
	s_or_b64 s[26:27], s[26:27], s[0:1]
                                        ; implicit-def: $sgpr34_sgpr35
.LBB22_14:                              ;   in Loop: Header=BB22_15 Depth=3
	s_or_b64 exec, exec, s[36:37]
	s_xor_b64 s[0:1], s[26:27], -1
	s_and_b64 s[0:1], exec, s[0:1]
	s_or_b64 s[30:31], s[0:1], s[30:31]
	s_andn2_b64 s[0:1], s[34:35], exec
	s_and_b64 s[36:37], s[28:29], exec
	s_or_b64 s[34:35], s[0:1], s[36:37]
	s_andn2_b64 s[0:1], s[24:25], exec
	s_or_b64 s[24:25], s[0:1], s[36:37]
	s_andn2_b64 exec, exec, s[30:31]
	s_cbranch_execz .LBB22_11
.LBB22_15:                              ;   Parent Loop BB22_9 Depth=1
                                        ;     Parent Loop BB22_12 Depth=2
                                        ; =>    This Inner Loop Header: Depth=3
	v_lshl_add_u32 v7, v10, 3, 0
	ds_read_b64 v[12:13], v7
	s_andn2_b64 s[28:29], s[28:29], exec
	s_andn2_b64 s[26:27], s[26:27], exec
	s_waitcnt lgkmcnt(0)
	v_cmp_ne_u64_e32 vcc, v[12:13], v[8:9]
	s_and_saveexec_b64 s[36:37], vcc
	s_cbranch_execz .LBB22_14
; %bb.16:                               ;   in Loop: Header=BB22_15 Depth=3
	v_cmp_ne_u64_e32 vcc, -1, v[12:13]
                                        ; implicit-def: $sgpr38_sgpr39
                                        ; implicit-def: $sgpr0_sgpr1
	s_and_saveexec_b64 s[40:41], vcc
	s_xor_b64 s[40:41], exec, s[40:41]
; %bb.17:                               ;   in Loop: Header=BB22_15 Depth=3
	v_add_u32_e32 v7, 1, v10
	v_and_b32_e32 v10, 0x7ff, v7
	s_mov_b64 s[0:1], -1
	s_and_b64 s[38:39], s[34:35], exec
                                        ; implicit-def: $vgpr7
; %bb.18:                               ;   in Loop: Header=BB22_15 Depth=3
	s_andn2_saveexec_b64 s[40:41], s[40:41]
	s_cbranch_execz .LBB22_13
; %bb.19:                               ;   in Loop: Header=BB22_15 Depth=3
	v_pk_mov_b32 v[12:13], -1, -1
	ds_cmpst_rtn_b64 v[12:13], v7, v[12:13], v[8:9]
	s_andn2_b64 s[44:45], s[0:1], exec
	s_andn2_b64 s[38:39], s[38:39], exec
	s_waitcnt lgkmcnt(0)
	v_cmp_eq_u64_e64 s[0:1], -1, v[12:13]
	v_cmp_ne_u64_e32 vcc, -1, v[12:13]
	s_or_b64 s[34:35], s[0:1], s[34:35]
	s_and_b64 s[0:1], vcc, exec
	s_and_b64 s[34:35], s[34:35], exec
	s_or_b64 s[0:1], s[44:45], s[0:1]
	s_or_b64 s[38:39], s[38:39], s[34:35]
	s_branch .LBB22_13
.LBB22_20:
	s_or_b64 exec, exec, s[18:19]
.LBB22_21:
	s_or_b64 exec, exec, s[6:7]
.LBB22_22:
	s_load_dword s0, s[4:5], 0x54
	s_waitcnt lgkmcnt(0)
	s_bfe_u32 s0, s0, 0x10008
	s_cmp_eq_u32 s0, 0
	s_cbranch_scc1 .LBB22_36
; %bb.23:
	s_load_dwordx2 s[0:1], s[4:5], 0x30
	s_lshl_b64 s[6:7], s[2:3], 2
	v_subrev_u32_e32 v4, s10, v14
	s_waitcnt lgkmcnt(0)
	s_add_u32 s0, s0, s6
	s_addc_u32 s1, s1, s7
	s_load_dwordx2 s[0:1], s[0:1], 0x0
	s_waitcnt lgkmcnt(0)
	s_sub_i32 s11, s1, s10
	v_add_u32_e32 v4, s0, v4
	v_cmp_gt_i32_e32 vcc, s11, v4
	s_and_saveexec_b64 s[6:7], vcc
	s_cbranch_execz .LBB22_35
; %bb.24:
	s_load_dwordx2 s[8:9], s[4:5], 0x38
	s_mov_b32 s0, 0
	s_mov_b64 s[12:13], 0
	v_mov_b32_e32 v9, s0
	s_waitcnt lgkmcnt(0)
	v_mov_b32_e32 v12, s9
	s_movk_i32 s9, 0x4f
	s_branch .LBB22_26
.LBB22_25:                              ;   in Loop: Header=BB22_26 Depth=1
	s_or_b64 exec, exec, s[20:21]
	v_add_u32_e32 v4, 16, v4
	v_cndmask_b32_e64 v5, 0, 1, s[14:15]
	v_cmp_le_i32_e32 vcc, s11, v4
	s_or_b64 s[12:13], vcc, s[12:13]
	v_add_co_u32_e32 v2, vcc, v2, v5
	v_addc_co_u32_e32 v3, vcc, 0, v3, vcc
	s_andn2_b64 exec, exec, s[12:13]
	s_cbranch_execz .LBB22_34
.LBB22_26:                              ; =>This Loop Header: Depth=1
                                        ;     Child Loop BB22_29 Depth 2
	v_ashrrev_i32_e32 v5, 31, v4
	v_lshlrev_b64 v[6:7], 3, v[4:5]
	v_add_co_u32_e32 v6, vcc, s8, v6
	v_addc_co_u32_e32 v7, vcc, v12, v7, vcc
	global_load_dwordx2 v[6:7], v[6:7], off
	s_mov_b64 s[20:21], 0
                                        ; implicit-def: $sgpr14_sgpr15
                                        ; implicit-def: $sgpr16_sgpr17
                                        ; implicit-def: $sgpr18_sgpr19
                                        ; implicit-def: $sgpr22_sgpr23
	s_waitcnt vmcnt(0)
	v_subrev_co_u32_e32 v6, vcc, s10, v6
	v_mul_lo_u32 v5, v6, s9
	v_subb_co_u32_e32 v7, vcc, v7, v9, vcc
	v_and_b32_e32 v8, 0x7ff, v5
	s_branch .LBB22_29
.LBB22_27:                              ;   in Loop: Header=BB22_29 Depth=2
	s_or_b64 exec, exec, s[28:29]
	s_andn2_b64 s[18:19], s[18:19], exec
	s_and_b64 s[22:23], s[26:27], exec
	s_andn2_b64 s[16:17], s[16:17], exec
	s_and_b64 s[0:1], s[0:1], exec
	s_or_b64 s[18:19], s[18:19], s[22:23]
	s_or_b64 s[16:17], s[16:17], s[0:1]
                                        ; implicit-def: $sgpr22_sgpr23
.LBB22_28:                              ;   in Loop: Header=BB22_29 Depth=2
	s_or_b64 exec, exec, s[24:25]
	s_xor_b64 s[0:1], s[16:17], -1
	s_and_b64 s[0:1], exec, s[0:1]
	s_or_b64 s[20:21], s[0:1], s[20:21]
	s_andn2_b64 s[0:1], s[22:23], exec
	s_and_b64 s[24:25], s[18:19], exec
	s_or_b64 s[22:23], s[0:1], s[24:25]
	s_andn2_b64 s[0:1], s[14:15], exec
	s_or_b64 s[14:15], s[0:1], s[24:25]
	s_andn2_b64 exec, exec, s[20:21]
	s_cbranch_execz .LBB22_25
.LBB22_29:                              ;   Parent Loop BB22_26 Depth=1
                                        ; =>  This Inner Loop Header: Depth=2
	v_lshl_add_u32 v5, v8, 3, 0
	ds_read_b64 v[10:11], v5
	s_andn2_b64 s[18:19], s[18:19], exec
	s_andn2_b64 s[16:17], s[16:17], exec
	s_waitcnt lgkmcnt(0)
	v_cmp_ne_u64_e32 vcc, v[10:11], v[6:7]
	s_and_saveexec_b64 s[24:25], vcc
	s_cbranch_execz .LBB22_28
; %bb.30:                               ;   in Loop: Header=BB22_29 Depth=2
	v_cmp_ne_u64_e32 vcc, -1, v[10:11]
                                        ; implicit-def: $sgpr26_sgpr27
                                        ; implicit-def: $sgpr0_sgpr1
	s_and_saveexec_b64 s[28:29], vcc
	s_xor_b64 s[28:29], exec, s[28:29]
; %bb.31:                               ;   in Loop: Header=BB22_29 Depth=2
	v_add_u32_e32 v5, 1, v8
	v_and_b32_e32 v8, 0x7ff, v5
	s_mov_b64 s[0:1], -1
	s_and_b64 s[26:27], s[22:23], exec
                                        ; implicit-def: $vgpr5
; %bb.32:                               ;   in Loop: Header=BB22_29 Depth=2
	s_andn2_saveexec_b64 s[28:29], s[28:29]
	s_cbranch_execz .LBB22_27
; %bb.33:                               ;   in Loop: Header=BB22_29 Depth=2
	v_pk_mov_b32 v[10:11], -1, -1
	ds_cmpst_rtn_b64 v[10:11], v5, v[10:11], v[6:7]
	s_andn2_b64 s[30:31], s[0:1], exec
	s_andn2_b64 s[26:27], s[26:27], exec
	s_waitcnt lgkmcnt(0)
	v_cmp_eq_u64_e64 s[0:1], -1, v[10:11]
	v_cmp_ne_u64_e32 vcc, -1, v[10:11]
	s_or_b64 s[22:23], s[0:1], s[22:23]
	s_and_b64 s[0:1], vcc, exec
	s_and_b64 s[22:23], s[22:23], exec
	s_or_b64 s[0:1], s[30:31], s[0:1]
	s_or_b64 s[26:27], s[26:27], s[22:23]
	s_branch .LBB22_27
.LBB22_34:
	s_or_b64 exec, exec, s[12:13]
.LBB22_35:
	s_or_b64 exec, exec, s[6:7]
.LBB22_36:
	v_mov_b32_dpp v4, v2 row_shr:1 row_mask:0xf bank_mask:0xf
	v_add_co_u32_e32 v2, vcc, v2, v4
	v_mov_b32_dpp v5, v3 row_shr:1 row_mask:0xf bank_mask:0xf
	v_addc_co_u32_e32 v3, vcc, 0, v3, vcc
	v_add_co_u32_e32 v4, vcc, 0, v2
	v_addc_co_u32_e32 v3, vcc, v5, v3, vcc
	v_mov_b32_dpp v2, v2 row_shr:2 row_mask:0xf bank_mask:0xf
	v_add_co_u32_e32 v2, vcc, v4, v2
	v_mov_b32_dpp v5, v3 row_shr:2 row_mask:0xf bank_mask:0xf
	v_addc_co_u32_e32 v3, vcc, 0, v3, vcc
	v_add_co_u32_e32 v4, vcc, 0, v2
	v_addc_co_u32_e32 v3, vcc, v3, v5, vcc
	v_mov_b32_dpp v2, v2 row_shr:4 row_mask:0xf bank_mask:0xe
	s_nop 0
	v_mov_b32_dpp v5, v3 row_shr:4 row_mask:0xf bank_mask:0xe
	v_add_co_u32_e32 v2, vcc, v2, v4
	v_addc_co_u32_e32 v3, vcc, v5, v3, vcc
	s_nop 0
	v_mov_b32_dpp v4, v2 row_shr:8 row_mask:0xf bank_mask:0xc
	v_mov_b32_dpp v5, v3 row_shr:8 row_mask:0xf bank_mask:0xc
	v_cmp_eq_u32_e32 vcc, 15, v15
	s_barrier
	s_and_saveexec_b64 s[0:1], vcc
	s_cbranch_execz .LBB22_38
; %bb.37:
	v_add_co_u32_e32 v2, vcc, v4, v2
	v_lshl_add_u32 v6, v14, 3, 0
	v_addc_co_u32_e32 v3, vcc, v5, v3, vcc
	ds_write_b64 v6, v[2:3]
.LBB22_38:
	s_or_b64 exec, exec, s[0:1]
	v_cmp_gt_u32_e32 vcc, 16, v0
	v_pk_mov_b32 v[2:3], 0, 0
	s_waitcnt lgkmcnt(0)
	s_barrier
	s_and_saveexec_b64 s[0:1], vcc
	s_cbranch_execz .LBB22_40
; %bb.39:
	ds_read_b64 v[2:3], v1
.LBB22_40:
	s_or_b64 exec, exec, s[0:1]
	s_waitcnt lgkmcnt(0)
	v_mov_b32_dpp v1, v2 row_shr:1 row_mask:0xf bank_mask:0xf
	v_add_u32_e32 v1, v2, v1
	v_cmp_eq_u32_e32 vcc, 15, v0
	s_nop 0
	v_mov_b32_dpp v2, v1 row_shr:2 row_mask:0xf bank_mask:0xf
	v_add_u32_e32 v1, v1, v2
	s_nop 1
	v_mov_b32_dpp v2, v1 row_shr:4 row_mask:0xf bank_mask:0xe
	v_add_u32_e32 v1, v2, v1
	s_nop 1
	v_mov_b32_dpp v2, v1 row_shr:8 row_mask:0xf bank_mask:0xc
	s_and_saveexec_b64 s[0:1], vcc
	s_cbranch_execz .LBB22_42
; %bb.41:
	s_load_dwordx2 s[0:1], s[4:5], 0x40
	s_lshl_b64 s[2:3], s[2:3], 2
	v_mov_b32_e32 v0, 0
	v_add_u32_e32 v1, v2, v1
	s_waitcnt lgkmcnt(0)
	s_add_u32 s0, s0, s2
	s_addc_u32 s1, s1, s3
	global_store_dword v0, v1, s[0:1]
.LBB22_42:
	s_endpgm
	.section	.rodata,"a",@progbits
	.p2align	6, 0x0
	.amdhsa_kernel _ZN9rocsparseL25csrgemm_nnz_block_per_rowILj256ELj16ELj2048ELj79EilEEvPKT4_S3_PKT3_S3_S6_S3_S6_S3_PS4_21rocsparse_index_base_S8_S8_bb
		.amdhsa_group_segment_fixed_size 0
		.amdhsa_private_segment_fixed_size 0
		.amdhsa_kernarg_size 88
		.amdhsa_user_sgpr_count 6
		.amdhsa_user_sgpr_private_segment_buffer 1
		.amdhsa_user_sgpr_dispatch_ptr 0
		.amdhsa_user_sgpr_queue_ptr 0
		.amdhsa_user_sgpr_kernarg_segment_ptr 1
		.amdhsa_user_sgpr_dispatch_id 0
		.amdhsa_user_sgpr_flat_scratch_init 0
		.amdhsa_user_sgpr_kernarg_preload_length 0
		.amdhsa_user_sgpr_kernarg_preload_offset 0
		.amdhsa_user_sgpr_private_segment_size 0
		.amdhsa_uses_dynamic_stack 0
		.amdhsa_system_sgpr_private_segment_wavefront_offset 0
		.amdhsa_system_sgpr_workgroup_id_x 1
		.amdhsa_system_sgpr_workgroup_id_y 0
		.amdhsa_system_sgpr_workgroup_id_z 0
		.amdhsa_system_sgpr_workgroup_info 0
		.amdhsa_system_vgpr_workitem_id 0
		.amdhsa_next_free_vgpr 19
		.amdhsa_next_free_sgpr 46
		.amdhsa_accum_offset 20
		.amdhsa_reserve_vcc 1
		.amdhsa_reserve_flat_scratch 0
		.amdhsa_float_round_mode_32 0
		.amdhsa_float_round_mode_16_64 0
		.amdhsa_float_denorm_mode_32 3
		.amdhsa_float_denorm_mode_16_64 3
		.amdhsa_dx10_clamp 1
		.amdhsa_ieee_mode 1
		.amdhsa_fp16_overflow 0
		.amdhsa_tg_split 0
		.amdhsa_exception_fp_ieee_invalid_op 0
		.amdhsa_exception_fp_denorm_src 0
		.amdhsa_exception_fp_ieee_div_zero 0
		.amdhsa_exception_fp_ieee_overflow 0
		.amdhsa_exception_fp_ieee_underflow 0
		.amdhsa_exception_fp_ieee_inexact 0
		.amdhsa_exception_int_div_zero 0
	.end_amdhsa_kernel
	.section	.text._ZN9rocsparseL25csrgemm_nnz_block_per_rowILj256ELj16ELj2048ELj79EilEEvPKT4_S3_PKT3_S3_S6_S3_S6_S3_PS4_21rocsparse_index_base_S8_S8_bb,"axG",@progbits,_ZN9rocsparseL25csrgemm_nnz_block_per_rowILj256ELj16ELj2048ELj79EilEEvPKT4_S3_PKT3_S3_S6_S3_S6_S3_PS4_21rocsparse_index_base_S8_S8_bb,comdat
.Lfunc_end22:
	.size	_ZN9rocsparseL25csrgemm_nnz_block_per_rowILj256ELj16ELj2048ELj79EilEEvPKT4_S3_PKT3_S3_S6_S3_S6_S3_PS4_21rocsparse_index_base_S8_S8_bb, .Lfunc_end22-_ZN9rocsparseL25csrgemm_nnz_block_per_rowILj256ELj16ELj2048ELj79EilEEvPKT4_S3_PKT3_S3_S6_S3_S6_S3_PS4_21rocsparse_index_base_S8_S8_bb
                                        ; -- End function
	.section	.AMDGPU.csdata,"",@progbits
; Kernel info:
; codeLenInByte = 1624
; NumSgprs: 50
; NumVgprs: 19
; NumAgprs: 0
; TotalNumVgprs: 19
; ScratchSize: 0
; MemoryBound: 0
; FloatMode: 240
; IeeeMode: 1
; LDSByteSize: 0 bytes/workgroup (compile time only)
; SGPRBlocks: 6
; VGPRBlocks: 2
; NumSGPRsForWavesPerEU: 50
; NumVGPRsForWavesPerEU: 19
; AccumOffset: 20
; Occupancy: 8
; WaveLimiterHint : 1
; COMPUTE_PGM_RSRC2:SCRATCH_EN: 0
; COMPUTE_PGM_RSRC2:USER_SGPR: 6
; COMPUTE_PGM_RSRC2:TRAP_HANDLER: 0
; COMPUTE_PGM_RSRC2:TGID_X_EN: 1
; COMPUTE_PGM_RSRC2:TGID_Y_EN: 0
; COMPUTE_PGM_RSRC2:TGID_Z_EN: 0
; COMPUTE_PGM_RSRC2:TIDIG_COMP_CNT: 0
; COMPUTE_PGM_RSRC3_GFX90A:ACCUM_OFFSET: 4
; COMPUTE_PGM_RSRC3_GFX90A:TG_SPLIT: 0
	.section	.text._ZN9rocsparseL25csrgemm_nnz_block_per_rowILj512ELj16ELj4096ELj79EilEEvPKT4_S3_PKT3_S3_S6_S3_S6_S3_PS4_21rocsparse_index_base_S8_S8_bb,"axG",@progbits,_ZN9rocsparseL25csrgemm_nnz_block_per_rowILj512ELj16ELj4096ELj79EilEEvPKT4_S3_PKT3_S3_S6_S3_S6_S3_PS4_21rocsparse_index_base_S8_S8_bb,comdat
	.globl	_ZN9rocsparseL25csrgemm_nnz_block_per_rowILj512ELj16ELj4096ELj79EilEEvPKT4_S3_PKT3_S3_S6_S3_S6_S3_PS4_21rocsparse_index_base_S8_S8_bb ; -- Begin function _ZN9rocsparseL25csrgemm_nnz_block_per_rowILj512ELj16ELj4096ELj79EilEEvPKT4_S3_PKT3_S3_S6_S3_S6_S3_PS4_21rocsparse_index_base_S8_S8_bb
	.p2align	8
	.type	_ZN9rocsparseL25csrgemm_nnz_block_per_rowILj512ELj16ELj4096ELj79EilEEvPKT4_S3_PKT3_S3_S6_S3_S6_S3_PS4_21rocsparse_index_base_S8_S8_bb,@function
_ZN9rocsparseL25csrgemm_nnz_block_per_rowILj512ELj16ELj4096ELj79EilEEvPKT4_S3_PKT3_S3_S6_S3_S6_S3_PS4_21rocsparse_index_base_S8_S8_bb: ; @_ZN9rocsparseL25csrgemm_nnz_block_per_rowILj512ELj16ELj4096ELj79EilEEvPKT4_S3_PKT3_S3_S6_S3_S6_S3_PS4_21rocsparse_index_base_S8_S8_bb
; %bb.0:
	s_load_dwordx4 s[0:3], s[4:5], 0x0
	s_mov_b32 s7, 0
	s_mov_b32 s8, -1
	s_mov_b32 s9, s8
	v_or_b32_e32 v4, 0xc00, v0
	s_waitcnt lgkmcnt(0)
	s_load_dwordx2 s[0:1], s[0:1], 0x0
	v_lshl_add_u32 v1, v0, 3, 0
	v_pk_mov_b32 v[2:3], s[8:9], s[8:9] op_sel:[0,1]
	s_waitcnt lgkmcnt(0)
	s_lshl_b64 s[0:1], s[0:1], 3
	s_add_u32 s2, s2, s0
	s_addc_u32 s3, s3, s1
	s_lshl_b64 s[0:1], s[6:7], 3
	s_add_u32 s0, s2, s0
	s_addc_u32 s1, s3, s1
	s_load_dwordx2 s[2:3], s[0:1], 0x0
	s_movk_i32 s0, 0xe00
	v_cmp_gt_u32_e32 vcc, s0, v4
	ds_write2st64_b64 v1, v[2:3], v[2:3] offset1:8
	ds_write2st64_b64 v1, v[2:3], v[2:3] offset0:16 offset1:24
	ds_write2st64_b64 v1, v[2:3], v[2:3] offset0:32 offset1:40
	ds_write_b64 v1, v[2:3] offset:24576
	s_and_saveexec_b64 s[0:1], vcc
	s_cbranch_execz .LBB23_2
; %bb.1:
	v_mov_b32_e32 v2, -1
	v_mov_b32_e32 v3, v2
	ds_write_b64 v1, v[2:3] offset:28672
.LBB23_2:
	s_or_b64 exec, exec, s[0:1]
	s_load_dwordx4 s[8:11], s[4:5], 0x48
	v_and_b32_e32 v15, 15, v0
	v_lshrrev_b32_e32 v14, 4, v0
	v_pk_mov_b32 v[2:3], 0, 0
	s_waitcnt lgkmcnt(0)
	s_bitcmp1_b32 s11, 0
	s_cselect_b64 s[0:1], -1, 0
	s_and_b64 vcc, exec, s[0:1]
	s_barrier
	s_cbranch_vccz .LBB23_20
; %bb.3:
	s_load_dwordx2 s[0:1], s[4:5], 0x10
	s_lshl_b64 s[6:7], s[2:3], 2
	v_subrev_u32_e32 v2, s8, v14
	s_waitcnt lgkmcnt(0)
	s_add_u32 s0, s0, s6
	s_addc_u32 s1, s1, s7
	s_load_dwordx2 s[0:1], s[0:1], 0x0
	s_waitcnt lgkmcnt(0)
	s_sub_i32 s11, s1, s8
	v_add_u32_e32 v4, s0, v2
	v_cmp_gt_i32_e32 vcc, s11, v4
	v_pk_mov_b32 v[2:3], 0, 0
	s_and_saveexec_b64 s[6:7], vcc
	s_cbranch_execz .LBB23_19
; %bb.4:
	s_load_dwordx4 s[12:15], s[4:5], 0x18
	s_load_dwordx2 s[16:17], s[4:5], 0x28
	s_mov_b32 s0, 0
	v_subrev_u32_e32 v11, s9, v15
	s_mov_b32 s33, s9
	s_mov_b32 s42, s0
	s_mov_b64 s[18:19], 0
	v_pk_mov_b32 v[2:3], 0, 0
	s_waitcnt lgkmcnt(0)
	v_mov_b32_e32 v16, s13
	v_mov_b32_e32 v17, s0
	v_mov_b32_e32 v18, s15
	s_movk_i32 s13, 0x4f
	s_branch .LBB23_7
.LBB23_5:                               ;   in Loop: Header=BB23_7 Depth=1
	s_or_b64 exec, exec, s[22:23]
.LBB23_6:                               ;   in Loop: Header=BB23_7 Depth=1
	s_or_b64 exec, exec, s[20:21]
	v_add_u32_e32 v4, 32, v4
	v_cmp_le_i32_e32 vcc, s11, v4
	s_or_b64 s[18:19], vcc, s[18:19]
	s_andn2_b64 exec, exec, s[18:19]
	s_cbranch_execz .LBB23_18
.LBB23_7:                               ; =>This Loop Header: Depth=1
                                        ;     Child Loop BB23_10 Depth 2
                                        ;       Child Loop BB23_13 Depth 3
	v_ashrrev_i32_e32 v5, 31, v4
	v_lshlrev_b64 v[6:7], 3, v[4:5]
	v_add_co_u32_e32 v6, vcc, s12, v6
	v_addc_co_u32_e32 v7, vcc, v16, v7, vcc
	global_load_dwordx2 v[6:7], v[6:7], off
	s_waitcnt vmcnt(0)
	v_subrev_co_u32_e32 v6, vcc, s8, v6
	v_subb_co_u32_e32 v7, vcc, v7, v17, vcc
	v_lshlrev_b64 v[6:7], 2, v[6:7]
	v_add_co_u32_e32 v6, vcc, s14, v6
	v_addc_co_u32_e32 v7, vcc, v18, v7, vcc
	global_load_dwordx2 v[6:7], v[6:7], off
	s_waitcnt vmcnt(0)
	v_subrev_u32_e32 v5, s9, v7
	v_add_u32_e32 v6, v11, v6
	v_cmp_lt_i32_e32 vcc, v6, v5
	s_and_saveexec_b64 s[20:21], vcc
	s_cbranch_execz .LBB23_6
; %bb.8:                                ;   in Loop: Header=BB23_7 Depth=1
	s_mov_b64 s[22:23], 0
	s_branch .LBB23_10
.LBB23_9:                               ;   in Loop: Header=BB23_10 Depth=2
	s_or_b64 exec, exec, s[30:31]
	v_add_u32_e32 v6, 16, v6
	v_cndmask_b32_e64 v7, 0, 1, s[24:25]
	v_cmp_ge_i32_e32 vcc, v6, v5
	s_or_b64 s[22:23], vcc, s[22:23]
	v_add_co_u32_e32 v2, vcc, v2, v7
	v_addc_co_u32_e32 v3, vcc, 0, v3, vcc
	s_andn2_b64 exec, exec, s[22:23]
	s_cbranch_execz .LBB23_5
.LBB23_10:                              ;   Parent Loop BB23_7 Depth=1
                                        ; =>  This Loop Header: Depth=2
                                        ;       Child Loop BB23_13 Depth 3
	v_ashrrev_i32_e32 v7, 31, v6
	v_lshlrev_b64 v[8:9], 3, v[6:7]
	v_mov_b32_e32 v7, s17
	v_add_co_u32_e32 v8, vcc, s16, v8
	v_addc_co_u32_e32 v9, vcc, v7, v9, vcc
	global_load_dwordx2 v[8:9], v[8:9], off
	v_mov_b32_e32 v7, s42
	s_mov_b64 s[30:31], 0
                                        ; implicit-def: $sgpr24_sgpr25
                                        ; implicit-def: $sgpr26_sgpr27
                                        ; implicit-def: $sgpr28_sgpr29
                                        ; implicit-def: $sgpr34_sgpr35
	s_waitcnt vmcnt(0)
	v_subrev_co_u32_e32 v8, vcc, s33, v8
	v_subb_co_u32_e32 v9, vcc, v9, v7, vcc
	v_mul_lo_u32 v7, v8, s13
	v_and_b32_e32 v10, 0xfff, v7
	s_branch .LBB23_13
.LBB23_11:                              ;   in Loop: Header=BB23_13 Depth=3
	s_or_b64 exec, exec, s[40:41]
	s_andn2_b64 s[28:29], s[28:29], exec
	s_and_b64 s[34:35], s[38:39], exec
	s_andn2_b64 s[26:27], s[26:27], exec
	s_and_b64 s[0:1], s[0:1], exec
	s_or_b64 s[28:29], s[28:29], s[34:35]
	s_or_b64 s[26:27], s[26:27], s[0:1]
                                        ; implicit-def: $sgpr34_sgpr35
.LBB23_12:                              ;   in Loop: Header=BB23_13 Depth=3
	s_or_b64 exec, exec, s[36:37]
	s_xor_b64 s[0:1], s[26:27], -1
	s_and_b64 s[0:1], exec, s[0:1]
	s_or_b64 s[30:31], s[0:1], s[30:31]
	s_andn2_b64 s[0:1], s[34:35], exec
	s_and_b64 s[36:37], s[28:29], exec
	s_or_b64 s[34:35], s[0:1], s[36:37]
	s_andn2_b64 s[0:1], s[24:25], exec
	s_or_b64 s[24:25], s[0:1], s[36:37]
	s_andn2_b64 exec, exec, s[30:31]
	s_cbranch_execz .LBB23_9
.LBB23_13:                              ;   Parent Loop BB23_7 Depth=1
                                        ;     Parent Loop BB23_10 Depth=2
                                        ; =>    This Inner Loop Header: Depth=3
	v_lshl_add_u32 v7, v10, 3, 0
	ds_read_b64 v[12:13], v7
	s_andn2_b64 s[28:29], s[28:29], exec
	s_andn2_b64 s[26:27], s[26:27], exec
	s_waitcnt lgkmcnt(0)
	v_cmp_ne_u64_e32 vcc, v[12:13], v[8:9]
	s_and_saveexec_b64 s[36:37], vcc
	s_cbranch_execz .LBB23_12
; %bb.14:                               ;   in Loop: Header=BB23_13 Depth=3
	v_cmp_ne_u64_e32 vcc, -1, v[12:13]
                                        ; implicit-def: $sgpr38_sgpr39
                                        ; implicit-def: $sgpr0_sgpr1
	s_and_saveexec_b64 s[40:41], vcc
	s_xor_b64 s[40:41], exec, s[40:41]
; %bb.15:                               ;   in Loop: Header=BB23_13 Depth=3
	v_add_u32_e32 v7, 1, v10
	v_and_b32_e32 v10, 0xfff, v7
	s_mov_b64 s[0:1], -1
	s_and_b64 s[38:39], s[34:35], exec
                                        ; implicit-def: $vgpr7
; %bb.16:                               ;   in Loop: Header=BB23_13 Depth=3
	s_andn2_saveexec_b64 s[40:41], s[40:41]
	s_cbranch_execz .LBB23_11
; %bb.17:                               ;   in Loop: Header=BB23_13 Depth=3
	v_pk_mov_b32 v[12:13], -1, -1
	ds_cmpst_rtn_b64 v[12:13], v7, v[12:13], v[8:9]
	s_andn2_b64 s[44:45], s[0:1], exec
	s_andn2_b64 s[38:39], s[38:39], exec
	s_waitcnt lgkmcnt(0)
	v_cmp_eq_u64_e64 s[0:1], -1, v[12:13]
	v_cmp_ne_u64_e32 vcc, -1, v[12:13]
	s_or_b64 s[34:35], s[0:1], s[34:35]
	s_and_b64 s[0:1], vcc, exec
	s_and_b64 s[34:35], s[34:35], exec
	s_or_b64 s[0:1], s[44:45], s[0:1]
	s_or_b64 s[38:39], s[38:39], s[34:35]
	s_branch .LBB23_11
.LBB23_18:
	s_or_b64 exec, exec, s[18:19]
.LBB23_19:
	s_or_b64 exec, exec, s[6:7]
.LBB23_20:
	s_load_dword s0, s[4:5], 0x54
	s_waitcnt lgkmcnt(0)
	s_bfe_u32 s0, s0, 0x10008
	s_cmp_eq_u32 s0, 0
	s_cbranch_scc1 .LBB23_34
; %bb.21:
	s_load_dwordx2 s[0:1], s[4:5], 0x30
	s_lshl_b64 s[6:7], s[2:3], 2
	v_subrev_u32_e32 v4, s10, v14
	s_waitcnt lgkmcnt(0)
	s_add_u32 s0, s0, s6
	s_addc_u32 s1, s1, s7
	s_load_dwordx2 s[0:1], s[0:1], 0x0
	s_waitcnt lgkmcnt(0)
	s_sub_i32 s11, s1, s10
	v_add_u32_e32 v4, s0, v4
	v_cmp_gt_i32_e32 vcc, s11, v4
	s_and_saveexec_b64 s[6:7], vcc
	s_cbranch_execz .LBB23_33
; %bb.22:
	s_load_dwordx2 s[8:9], s[4:5], 0x38
	s_mov_b32 s0, 0
	s_mov_b64 s[12:13], 0
	v_mov_b32_e32 v9, s0
	s_waitcnt lgkmcnt(0)
	v_mov_b32_e32 v12, s9
	s_movk_i32 s9, 0x4f
	s_branch .LBB23_24
.LBB23_23:                              ;   in Loop: Header=BB23_24 Depth=1
	s_or_b64 exec, exec, s[20:21]
	v_add_u32_e32 v4, 32, v4
	v_cndmask_b32_e64 v5, 0, 1, s[14:15]
	v_cmp_le_i32_e32 vcc, s11, v4
	s_or_b64 s[12:13], vcc, s[12:13]
	v_add_co_u32_e32 v2, vcc, v2, v5
	v_addc_co_u32_e32 v3, vcc, 0, v3, vcc
	s_andn2_b64 exec, exec, s[12:13]
	s_cbranch_execz .LBB23_32
.LBB23_24:                              ; =>This Loop Header: Depth=1
                                        ;     Child Loop BB23_27 Depth 2
	v_ashrrev_i32_e32 v5, 31, v4
	v_lshlrev_b64 v[6:7], 3, v[4:5]
	v_add_co_u32_e32 v6, vcc, s8, v6
	v_addc_co_u32_e32 v7, vcc, v12, v7, vcc
	global_load_dwordx2 v[6:7], v[6:7], off
	s_mov_b64 s[20:21], 0
                                        ; implicit-def: $sgpr14_sgpr15
                                        ; implicit-def: $sgpr16_sgpr17
                                        ; implicit-def: $sgpr18_sgpr19
                                        ; implicit-def: $sgpr22_sgpr23
	s_waitcnt vmcnt(0)
	v_subrev_co_u32_e32 v6, vcc, s10, v6
	v_mul_lo_u32 v5, v6, s9
	v_subb_co_u32_e32 v7, vcc, v7, v9, vcc
	v_and_b32_e32 v8, 0xfff, v5
	s_branch .LBB23_27
.LBB23_25:                              ;   in Loop: Header=BB23_27 Depth=2
	s_or_b64 exec, exec, s[28:29]
	s_andn2_b64 s[18:19], s[18:19], exec
	s_and_b64 s[22:23], s[26:27], exec
	s_andn2_b64 s[16:17], s[16:17], exec
	s_and_b64 s[0:1], s[0:1], exec
	s_or_b64 s[18:19], s[18:19], s[22:23]
	s_or_b64 s[16:17], s[16:17], s[0:1]
                                        ; implicit-def: $sgpr22_sgpr23
.LBB23_26:                              ;   in Loop: Header=BB23_27 Depth=2
	s_or_b64 exec, exec, s[24:25]
	s_xor_b64 s[0:1], s[16:17], -1
	s_and_b64 s[0:1], exec, s[0:1]
	s_or_b64 s[20:21], s[0:1], s[20:21]
	s_andn2_b64 s[0:1], s[22:23], exec
	s_and_b64 s[24:25], s[18:19], exec
	s_or_b64 s[22:23], s[0:1], s[24:25]
	s_andn2_b64 s[0:1], s[14:15], exec
	s_or_b64 s[14:15], s[0:1], s[24:25]
	s_andn2_b64 exec, exec, s[20:21]
	s_cbranch_execz .LBB23_23
.LBB23_27:                              ;   Parent Loop BB23_24 Depth=1
                                        ; =>  This Inner Loop Header: Depth=2
	v_lshl_add_u32 v5, v8, 3, 0
	ds_read_b64 v[10:11], v5
	s_andn2_b64 s[18:19], s[18:19], exec
	s_andn2_b64 s[16:17], s[16:17], exec
	s_waitcnt lgkmcnt(0)
	v_cmp_ne_u64_e32 vcc, v[10:11], v[6:7]
	s_and_saveexec_b64 s[24:25], vcc
	s_cbranch_execz .LBB23_26
; %bb.28:                               ;   in Loop: Header=BB23_27 Depth=2
	v_cmp_ne_u64_e32 vcc, -1, v[10:11]
                                        ; implicit-def: $sgpr26_sgpr27
                                        ; implicit-def: $sgpr0_sgpr1
	s_and_saveexec_b64 s[28:29], vcc
	s_xor_b64 s[28:29], exec, s[28:29]
; %bb.29:                               ;   in Loop: Header=BB23_27 Depth=2
	v_add_u32_e32 v5, 1, v8
	v_and_b32_e32 v8, 0xfff, v5
	s_mov_b64 s[0:1], -1
	s_and_b64 s[26:27], s[22:23], exec
                                        ; implicit-def: $vgpr5
; %bb.30:                               ;   in Loop: Header=BB23_27 Depth=2
	s_andn2_saveexec_b64 s[28:29], s[28:29]
	s_cbranch_execz .LBB23_25
; %bb.31:                               ;   in Loop: Header=BB23_27 Depth=2
	v_pk_mov_b32 v[10:11], -1, -1
	ds_cmpst_rtn_b64 v[10:11], v5, v[10:11], v[6:7]
	s_andn2_b64 s[30:31], s[0:1], exec
	s_andn2_b64 s[26:27], s[26:27], exec
	s_waitcnt lgkmcnt(0)
	v_cmp_eq_u64_e64 s[0:1], -1, v[10:11]
	v_cmp_ne_u64_e32 vcc, -1, v[10:11]
	s_or_b64 s[22:23], s[0:1], s[22:23]
	s_and_b64 s[0:1], vcc, exec
	s_and_b64 s[22:23], s[22:23], exec
	s_or_b64 s[0:1], s[30:31], s[0:1]
	s_or_b64 s[26:27], s[26:27], s[22:23]
	s_branch .LBB23_25
.LBB23_32:
	s_or_b64 exec, exec, s[12:13]
.LBB23_33:
	s_or_b64 exec, exec, s[6:7]
.LBB23_34:
	v_mov_b32_dpp v4, v2 row_shr:1 row_mask:0xf bank_mask:0xf
	v_add_co_u32_e32 v2, vcc, v2, v4
	v_mov_b32_dpp v5, v3 row_shr:1 row_mask:0xf bank_mask:0xf
	v_addc_co_u32_e32 v3, vcc, 0, v3, vcc
	v_add_co_u32_e32 v4, vcc, 0, v2
	v_addc_co_u32_e32 v3, vcc, v5, v3, vcc
	v_mov_b32_dpp v2, v2 row_shr:2 row_mask:0xf bank_mask:0xf
	v_add_co_u32_e32 v2, vcc, v4, v2
	v_mov_b32_dpp v5, v3 row_shr:2 row_mask:0xf bank_mask:0xf
	v_addc_co_u32_e32 v3, vcc, 0, v3, vcc
	v_add_co_u32_e32 v4, vcc, 0, v2
	v_addc_co_u32_e32 v3, vcc, v3, v5, vcc
	v_mov_b32_dpp v2, v2 row_shr:4 row_mask:0xf bank_mask:0xe
	s_nop 0
	v_mov_b32_dpp v5, v3 row_shr:4 row_mask:0xf bank_mask:0xe
	v_add_co_u32_e32 v2, vcc, v2, v4
	v_addc_co_u32_e32 v3, vcc, v5, v3, vcc
	s_nop 0
	v_mov_b32_dpp v4, v2 row_shr:8 row_mask:0xf bank_mask:0xc
	v_mov_b32_dpp v5, v3 row_shr:8 row_mask:0xf bank_mask:0xc
	v_cmp_eq_u32_e32 vcc, 15, v15
	s_barrier
	s_and_saveexec_b64 s[0:1], vcc
	s_cbranch_execz .LBB23_36
; %bb.35:
	v_add_co_u32_e32 v2, vcc, v4, v2
	v_lshl_add_u32 v6, v14, 3, 0
	v_addc_co_u32_e32 v3, vcc, v5, v3, vcc
	ds_write_b64 v6, v[2:3]
.LBB23_36:
	s_or_b64 exec, exec, s[0:1]
	v_cmp_gt_u32_e32 vcc, 32, v0
	v_pk_mov_b32 v[2:3], 0, 0
	s_waitcnt lgkmcnt(0)
	s_barrier
	s_and_saveexec_b64 s[0:1], vcc
	s_cbranch_execz .LBB23_38
; %bb.37:
	ds_read_b64 v[2:3], v1
.LBB23_38:
	s_or_b64 exec, exec, s[0:1]
	s_waitcnt lgkmcnt(0)
	v_mov_b32_dpp v1, v2 row_shr:1 row_mask:0xf bank_mask:0xf
	v_add_u32_e32 v1, v2, v1
	v_cmp_eq_u32_e32 vcc, 31, v0
	s_nop 0
	v_mov_b32_dpp v2, v1 row_shr:2 row_mask:0xf bank_mask:0xf
	v_add_u32_e32 v1, v1, v2
	s_nop 1
	v_mov_b32_dpp v2, v1 row_shr:4 row_mask:0xf bank_mask:0xe
	v_add_u32_e32 v1, v1, v2
	;; [unrolled: 3-line block ×3, first 2 shown]
	s_nop 1
	v_mov_b32_dpp v2, v1 row_bcast:15 row_mask:0xa bank_mask:0xf
	s_and_saveexec_b64 s[0:1], vcc
	s_cbranch_execz .LBB23_40
; %bb.39:
	s_load_dwordx2 s[0:1], s[4:5], 0x40
	s_lshl_b64 s[2:3], s[2:3], 2
	v_mov_b32_e32 v0, 0
	v_add_u32_e32 v1, v2, v1
	s_waitcnt lgkmcnt(0)
	s_add_u32 s0, s0, s2
	s_addc_u32 s1, s1, s3
	global_store_dword v0, v1, s[0:1]
.LBB23_40:
	s_endpgm
	.section	.rodata,"a",@progbits
	.p2align	6, 0x0
	.amdhsa_kernel _ZN9rocsparseL25csrgemm_nnz_block_per_rowILj512ELj16ELj4096ELj79EilEEvPKT4_S3_PKT3_S3_S6_S3_S6_S3_PS4_21rocsparse_index_base_S8_S8_bb
		.amdhsa_group_segment_fixed_size 0
		.amdhsa_private_segment_fixed_size 0
		.amdhsa_kernarg_size 88
		.amdhsa_user_sgpr_count 6
		.amdhsa_user_sgpr_private_segment_buffer 1
		.amdhsa_user_sgpr_dispatch_ptr 0
		.amdhsa_user_sgpr_queue_ptr 0
		.amdhsa_user_sgpr_kernarg_segment_ptr 1
		.amdhsa_user_sgpr_dispatch_id 0
		.amdhsa_user_sgpr_flat_scratch_init 0
		.amdhsa_user_sgpr_kernarg_preload_length 0
		.amdhsa_user_sgpr_kernarg_preload_offset 0
		.amdhsa_user_sgpr_private_segment_size 0
		.amdhsa_uses_dynamic_stack 0
		.amdhsa_system_sgpr_private_segment_wavefront_offset 0
		.amdhsa_system_sgpr_workgroup_id_x 1
		.amdhsa_system_sgpr_workgroup_id_y 0
		.amdhsa_system_sgpr_workgroup_id_z 0
		.amdhsa_system_sgpr_workgroup_info 0
		.amdhsa_system_vgpr_workitem_id 0
		.amdhsa_next_free_vgpr 19
		.amdhsa_next_free_sgpr 46
		.amdhsa_accum_offset 20
		.amdhsa_reserve_vcc 1
		.amdhsa_reserve_flat_scratch 0
		.amdhsa_float_round_mode_32 0
		.amdhsa_float_round_mode_16_64 0
		.amdhsa_float_denorm_mode_32 3
		.amdhsa_float_denorm_mode_16_64 3
		.amdhsa_dx10_clamp 1
		.amdhsa_ieee_mode 1
		.amdhsa_fp16_overflow 0
		.amdhsa_tg_split 0
		.amdhsa_exception_fp_ieee_invalid_op 0
		.amdhsa_exception_fp_denorm_src 0
		.amdhsa_exception_fp_ieee_div_zero 0
		.amdhsa_exception_fp_ieee_overflow 0
		.amdhsa_exception_fp_ieee_underflow 0
		.amdhsa_exception_fp_ieee_inexact 0
		.amdhsa_exception_int_div_zero 0
	.end_amdhsa_kernel
	.section	.text._ZN9rocsparseL25csrgemm_nnz_block_per_rowILj512ELj16ELj4096ELj79EilEEvPKT4_S3_PKT3_S3_S6_S3_S6_S3_PS4_21rocsparse_index_base_S8_S8_bb,"axG",@progbits,_ZN9rocsparseL25csrgemm_nnz_block_per_rowILj512ELj16ELj4096ELj79EilEEvPKT4_S3_PKT3_S3_S6_S3_S6_S3_PS4_21rocsparse_index_base_S8_S8_bb,comdat
.Lfunc_end23:
	.size	_ZN9rocsparseL25csrgemm_nnz_block_per_rowILj512ELj16ELj4096ELj79EilEEvPKT4_S3_PKT3_S3_S6_S3_S6_S3_PS4_21rocsparse_index_base_S8_S8_bb, .Lfunc_end23-_ZN9rocsparseL25csrgemm_nnz_block_per_rowILj512ELj16ELj4096ELj79EilEEvPKT4_S3_PKT3_S3_S6_S3_S6_S3_PS4_21rocsparse_index_base_S8_S8_bb
                                        ; -- End function
	.section	.AMDGPU.csdata,"",@progbits
; Kernel info:
; codeLenInByte = 1584
; NumSgprs: 50
; NumVgprs: 19
; NumAgprs: 0
; TotalNumVgprs: 19
; ScratchSize: 0
; MemoryBound: 0
; FloatMode: 240
; IeeeMode: 1
; LDSByteSize: 0 bytes/workgroup (compile time only)
; SGPRBlocks: 6
; VGPRBlocks: 2
; NumSGPRsForWavesPerEU: 50
; NumVGPRsForWavesPerEU: 19
; AccumOffset: 20
; Occupancy: 8
; WaveLimiterHint : 1
; COMPUTE_PGM_RSRC2:SCRATCH_EN: 0
; COMPUTE_PGM_RSRC2:USER_SGPR: 6
; COMPUTE_PGM_RSRC2:TRAP_HANDLER: 0
; COMPUTE_PGM_RSRC2:TGID_X_EN: 1
; COMPUTE_PGM_RSRC2:TGID_Y_EN: 0
; COMPUTE_PGM_RSRC2:TGID_Z_EN: 0
; COMPUTE_PGM_RSRC2:TIDIG_COMP_CNT: 0
; COMPUTE_PGM_RSRC3_GFX90A:ACCUM_OFFSET: 4
; COMPUTE_PGM_RSRC3_GFX90A:TG_SPLIT: 0
	.section	.text._ZN9rocsparseL25csrgemm_nnz_block_per_rowILj1024ELj32ELj8192ELj79EilEEvPKT4_S3_PKT3_S3_S6_S3_S6_S3_PS4_21rocsparse_index_base_S8_S8_bb,"axG",@progbits,_ZN9rocsparseL25csrgemm_nnz_block_per_rowILj1024ELj32ELj8192ELj79EilEEvPKT4_S3_PKT3_S3_S6_S3_S6_S3_PS4_21rocsparse_index_base_S8_S8_bb,comdat
	.globl	_ZN9rocsparseL25csrgemm_nnz_block_per_rowILj1024ELj32ELj8192ELj79EilEEvPKT4_S3_PKT3_S3_S6_S3_S6_S3_PS4_21rocsparse_index_base_S8_S8_bb ; -- Begin function _ZN9rocsparseL25csrgemm_nnz_block_per_rowILj1024ELj32ELj8192ELj79EilEEvPKT4_S3_PKT3_S3_S6_S3_S6_S3_PS4_21rocsparse_index_base_S8_S8_bb
	.p2align	8
	.type	_ZN9rocsparseL25csrgemm_nnz_block_per_rowILj1024ELj32ELj8192ELj79EilEEvPKT4_S3_PKT3_S3_S6_S3_S6_S3_PS4_21rocsparse_index_base_S8_S8_bb,@function
_ZN9rocsparseL25csrgemm_nnz_block_per_rowILj1024ELj32ELj8192ELj79EilEEvPKT4_S3_PKT3_S3_S6_S3_S6_S3_PS4_21rocsparse_index_base_S8_S8_bb: ; @_ZN9rocsparseL25csrgemm_nnz_block_per_rowILj1024ELj32ELj8192ELj79EilEEvPKT4_S3_PKT3_S3_S6_S3_S6_S3_PS4_21rocsparse_index_base_S8_S8_bb
; %bb.0:
	s_load_dwordx4 s[0:3], s[4:5], 0x0
	s_load_dwordx4 s[8:11], s[4:5], 0x48
	s_mov_b32 s7, 0
	s_mov_b32 s12, -1
	s_mov_b32 s13, s12
	s_waitcnt lgkmcnt(0)
	s_load_dwordx2 s[0:1], s[0:1], 0x0
	v_lshl_add_u32 v1, v0, 3, 0
	v_pk_mov_b32 v[2:3], s[12:13], s[12:13] op_sel:[0,1]
	v_and_b32_e32 v14, 31, v0
	v_lshrrev_b32_e32 v15, 5, v0
	s_waitcnt lgkmcnt(0)
	s_lshl_b64 s[0:1], s[0:1], 3
	s_add_u32 s2, s2, s0
	s_addc_u32 s3, s3, s1
	s_lshl_b64 s[0:1], s[6:7], 3
	s_add_u32 s0, s2, s0
	s_addc_u32 s1, s3, s1
	s_load_dwordx2 s[2:3], s[0:1], 0x0
	ds_write2st64_b64 v1, v[2:3], v[2:3] offset1:16
	ds_write2st64_b64 v1, v[2:3], v[2:3] offset0:32 offset1:48
	ds_write2st64_b64 v1, v[2:3], v[2:3] offset0:64 offset1:80
	;; [unrolled: 1-line block ×3, first 2 shown]
	s_bitcmp0_b32 s11, 0
	v_pk_mov_b32 v[2:3], 0, 0
	s_waitcnt lgkmcnt(0)
	s_barrier
	s_cbranch_scc1 .LBB24_18
; %bb.1:
	s_load_dwordx2 s[0:1], s[4:5], 0x10
	s_lshl_b64 s[6:7], s[2:3], 2
	v_subrev_u32_e32 v2, s8, v15
	s_waitcnt lgkmcnt(0)
	s_add_u32 s0, s0, s6
	s_addc_u32 s1, s1, s7
	s_load_dwordx2 s[0:1], s[0:1], 0x0
	s_waitcnt lgkmcnt(0)
	s_sub_i32 s11, s1, s8
	v_add_u32_e32 v4, s0, v2
	v_cmp_gt_i32_e32 vcc, s11, v4
	v_pk_mov_b32 v[2:3], 0, 0
	s_and_saveexec_b64 s[6:7], vcc
	s_cbranch_execz .LBB24_17
; %bb.2:
	s_load_dwordx4 s[12:15], s[4:5], 0x18
	s_load_dwordx2 s[16:17], s[4:5], 0x28
	s_mov_b32 s0, 0
	v_subrev_u32_e32 v11, s9, v14
	s_mov_b32 s33, s9
	s_mov_b32 s42, s0
	s_mov_b64 s[18:19], 0
	v_pk_mov_b32 v[2:3], 0, 0
	s_waitcnt lgkmcnt(0)
	v_mov_b32_e32 v16, s13
	v_mov_b32_e32 v17, s0
	;; [unrolled: 1-line block ×3, first 2 shown]
	s_movk_i32 s13, 0x4f
	s_branch .LBB24_5
.LBB24_3:                               ;   in Loop: Header=BB24_5 Depth=1
	s_or_b64 exec, exec, s[22:23]
.LBB24_4:                               ;   in Loop: Header=BB24_5 Depth=1
	s_or_b64 exec, exec, s[20:21]
	v_add_u32_e32 v4, 32, v4
	v_cmp_le_i32_e32 vcc, s11, v4
	s_or_b64 s[18:19], vcc, s[18:19]
	s_andn2_b64 exec, exec, s[18:19]
	s_cbranch_execz .LBB24_16
.LBB24_5:                               ; =>This Loop Header: Depth=1
                                        ;     Child Loop BB24_8 Depth 2
                                        ;       Child Loop BB24_11 Depth 3
	v_ashrrev_i32_e32 v5, 31, v4
	v_lshlrev_b64 v[6:7], 3, v[4:5]
	v_add_co_u32_e32 v6, vcc, s12, v6
	v_addc_co_u32_e32 v7, vcc, v16, v7, vcc
	global_load_dwordx2 v[6:7], v[6:7], off
	s_waitcnt vmcnt(0)
	v_subrev_co_u32_e32 v6, vcc, s8, v6
	v_subb_co_u32_e32 v7, vcc, v7, v17, vcc
	v_lshlrev_b64 v[6:7], 2, v[6:7]
	v_add_co_u32_e32 v6, vcc, s14, v6
	v_addc_co_u32_e32 v7, vcc, v18, v7, vcc
	global_load_dwordx2 v[6:7], v[6:7], off
	s_waitcnt vmcnt(0)
	v_subrev_u32_e32 v5, s9, v7
	v_add_u32_e32 v6, v11, v6
	v_cmp_lt_i32_e32 vcc, v6, v5
	s_and_saveexec_b64 s[20:21], vcc
	s_cbranch_execz .LBB24_4
; %bb.6:                                ;   in Loop: Header=BB24_5 Depth=1
	s_mov_b64 s[22:23], 0
	s_branch .LBB24_8
.LBB24_7:                               ;   in Loop: Header=BB24_8 Depth=2
	s_or_b64 exec, exec, s[30:31]
	v_add_u32_e32 v6, 32, v6
	v_cndmask_b32_e64 v7, 0, 1, s[24:25]
	v_cmp_ge_i32_e32 vcc, v6, v5
	s_or_b64 s[22:23], vcc, s[22:23]
	v_add_co_u32_e32 v2, vcc, v2, v7
	v_addc_co_u32_e32 v3, vcc, 0, v3, vcc
	s_andn2_b64 exec, exec, s[22:23]
	s_cbranch_execz .LBB24_3
.LBB24_8:                               ;   Parent Loop BB24_5 Depth=1
                                        ; =>  This Loop Header: Depth=2
                                        ;       Child Loop BB24_11 Depth 3
	v_ashrrev_i32_e32 v7, 31, v6
	v_lshlrev_b64 v[8:9], 3, v[6:7]
	v_mov_b32_e32 v7, s17
	v_add_co_u32_e32 v8, vcc, s16, v8
	v_addc_co_u32_e32 v9, vcc, v7, v9, vcc
	global_load_dwordx2 v[8:9], v[8:9], off
	v_mov_b32_e32 v7, s42
	s_mov_b64 s[30:31], 0
                                        ; implicit-def: $sgpr24_sgpr25
                                        ; implicit-def: $sgpr26_sgpr27
                                        ; implicit-def: $sgpr28_sgpr29
                                        ; implicit-def: $sgpr34_sgpr35
	s_waitcnt vmcnt(0)
	v_subrev_co_u32_e32 v8, vcc, s33, v8
	v_subb_co_u32_e32 v9, vcc, v9, v7, vcc
	v_mul_lo_u32 v7, v8, s13
	v_and_b32_e32 v10, 0x1fff, v7
	s_branch .LBB24_11
.LBB24_9:                               ;   in Loop: Header=BB24_11 Depth=3
	s_or_b64 exec, exec, s[40:41]
	s_andn2_b64 s[28:29], s[28:29], exec
	s_and_b64 s[34:35], s[38:39], exec
	s_andn2_b64 s[26:27], s[26:27], exec
	s_and_b64 s[0:1], s[0:1], exec
	s_or_b64 s[28:29], s[28:29], s[34:35]
	s_or_b64 s[26:27], s[26:27], s[0:1]
                                        ; implicit-def: $sgpr34_sgpr35
.LBB24_10:                              ;   in Loop: Header=BB24_11 Depth=3
	s_or_b64 exec, exec, s[36:37]
	s_xor_b64 s[0:1], s[26:27], -1
	s_and_b64 s[0:1], exec, s[0:1]
	s_or_b64 s[30:31], s[0:1], s[30:31]
	s_andn2_b64 s[0:1], s[34:35], exec
	s_and_b64 s[36:37], s[28:29], exec
	s_or_b64 s[34:35], s[0:1], s[36:37]
	s_andn2_b64 s[0:1], s[24:25], exec
	s_or_b64 s[24:25], s[0:1], s[36:37]
	s_andn2_b64 exec, exec, s[30:31]
	s_cbranch_execz .LBB24_7
.LBB24_11:                              ;   Parent Loop BB24_5 Depth=1
                                        ;     Parent Loop BB24_8 Depth=2
                                        ; =>    This Inner Loop Header: Depth=3
	v_lshl_add_u32 v7, v10, 3, 0
	ds_read_b64 v[12:13], v7
	s_andn2_b64 s[28:29], s[28:29], exec
	s_andn2_b64 s[26:27], s[26:27], exec
	s_waitcnt lgkmcnt(0)
	v_cmp_ne_u64_e32 vcc, v[12:13], v[8:9]
	s_and_saveexec_b64 s[36:37], vcc
	s_cbranch_execz .LBB24_10
; %bb.12:                               ;   in Loop: Header=BB24_11 Depth=3
	v_cmp_ne_u64_e32 vcc, -1, v[12:13]
                                        ; implicit-def: $sgpr38_sgpr39
                                        ; implicit-def: $sgpr0_sgpr1
	s_and_saveexec_b64 s[40:41], vcc
	s_xor_b64 s[40:41], exec, s[40:41]
; %bb.13:                               ;   in Loop: Header=BB24_11 Depth=3
	v_add_u32_e32 v7, 1, v10
	v_and_b32_e32 v10, 0x1fff, v7
	s_mov_b64 s[0:1], -1
	s_and_b64 s[38:39], s[34:35], exec
                                        ; implicit-def: $vgpr7
; %bb.14:                               ;   in Loop: Header=BB24_11 Depth=3
	s_andn2_saveexec_b64 s[40:41], s[40:41]
	s_cbranch_execz .LBB24_9
; %bb.15:                               ;   in Loop: Header=BB24_11 Depth=3
	v_pk_mov_b32 v[12:13], -1, -1
	ds_cmpst_rtn_b64 v[12:13], v7, v[12:13], v[8:9]
	s_andn2_b64 s[44:45], s[0:1], exec
	s_andn2_b64 s[38:39], s[38:39], exec
	s_waitcnt lgkmcnt(0)
	v_cmp_eq_u64_e64 s[0:1], -1, v[12:13]
	v_cmp_ne_u64_e32 vcc, -1, v[12:13]
	s_or_b64 s[34:35], s[0:1], s[34:35]
	s_and_b64 s[0:1], vcc, exec
	s_and_b64 s[34:35], s[34:35], exec
	s_or_b64 s[0:1], s[44:45], s[0:1]
	s_or_b64 s[38:39], s[38:39], s[34:35]
	s_branch .LBB24_9
.LBB24_16:
	s_or_b64 exec, exec, s[18:19]
.LBB24_17:
	s_or_b64 exec, exec, s[6:7]
.LBB24_18:
	s_load_dword s0, s[4:5], 0x54
	s_waitcnt lgkmcnt(0)
	s_bfe_u32 s0, s0, 0x10008
	s_cmp_eq_u32 s0, 0
	s_cbranch_scc1 .LBB24_32
; %bb.19:
	s_load_dwordx2 s[0:1], s[4:5], 0x30
	s_lshl_b64 s[6:7], s[2:3], 2
	v_subrev_u32_e32 v4, s10, v15
	s_waitcnt lgkmcnt(0)
	s_add_u32 s0, s0, s6
	s_addc_u32 s1, s1, s7
	s_load_dwordx2 s[0:1], s[0:1], 0x0
	s_waitcnt lgkmcnt(0)
	s_sub_i32 s11, s1, s10
	v_add_u32_e32 v4, s0, v4
	v_cmp_gt_i32_e32 vcc, s11, v4
	s_and_saveexec_b64 s[6:7], vcc
	s_cbranch_execz .LBB24_31
; %bb.20:
	s_load_dwordx2 s[8:9], s[4:5], 0x38
	s_mov_b32 s0, 0
	s_mov_b64 s[12:13], 0
	v_mov_b32_e32 v9, s0
	s_waitcnt lgkmcnt(0)
	v_mov_b32_e32 v12, s9
	s_movk_i32 s9, 0x4f
	s_branch .LBB24_22
.LBB24_21:                              ;   in Loop: Header=BB24_22 Depth=1
	s_or_b64 exec, exec, s[20:21]
	v_add_u32_e32 v4, 32, v4
	v_cndmask_b32_e64 v5, 0, 1, s[14:15]
	v_cmp_le_i32_e32 vcc, s11, v4
	s_or_b64 s[12:13], vcc, s[12:13]
	v_add_co_u32_e32 v2, vcc, v2, v5
	v_addc_co_u32_e32 v3, vcc, 0, v3, vcc
	s_andn2_b64 exec, exec, s[12:13]
	s_cbranch_execz .LBB24_30
.LBB24_22:                              ; =>This Loop Header: Depth=1
                                        ;     Child Loop BB24_25 Depth 2
	v_ashrrev_i32_e32 v5, 31, v4
	v_lshlrev_b64 v[6:7], 3, v[4:5]
	v_add_co_u32_e32 v6, vcc, s8, v6
	v_addc_co_u32_e32 v7, vcc, v12, v7, vcc
	global_load_dwordx2 v[6:7], v[6:7], off
	s_mov_b64 s[20:21], 0
                                        ; implicit-def: $sgpr14_sgpr15
                                        ; implicit-def: $sgpr16_sgpr17
                                        ; implicit-def: $sgpr18_sgpr19
                                        ; implicit-def: $sgpr22_sgpr23
	s_waitcnt vmcnt(0)
	v_subrev_co_u32_e32 v6, vcc, s10, v6
	v_mul_lo_u32 v5, v6, s9
	v_subb_co_u32_e32 v7, vcc, v7, v9, vcc
	v_and_b32_e32 v8, 0x1fff, v5
	s_branch .LBB24_25
.LBB24_23:                              ;   in Loop: Header=BB24_25 Depth=2
	s_or_b64 exec, exec, s[28:29]
	s_andn2_b64 s[18:19], s[18:19], exec
	s_and_b64 s[22:23], s[26:27], exec
	s_andn2_b64 s[16:17], s[16:17], exec
	s_and_b64 s[0:1], s[0:1], exec
	s_or_b64 s[18:19], s[18:19], s[22:23]
	s_or_b64 s[16:17], s[16:17], s[0:1]
                                        ; implicit-def: $sgpr22_sgpr23
.LBB24_24:                              ;   in Loop: Header=BB24_25 Depth=2
	s_or_b64 exec, exec, s[24:25]
	s_xor_b64 s[0:1], s[16:17], -1
	s_and_b64 s[0:1], exec, s[0:1]
	s_or_b64 s[20:21], s[0:1], s[20:21]
	s_andn2_b64 s[0:1], s[22:23], exec
	s_and_b64 s[24:25], s[18:19], exec
	s_or_b64 s[22:23], s[0:1], s[24:25]
	s_andn2_b64 s[0:1], s[14:15], exec
	s_or_b64 s[14:15], s[0:1], s[24:25]
	s_andn2_b64 exec, exec, s[20:21]
	s_cbranch_execz .LBB24_21
.LBB24_25:                              ;   Parent Loop BB24_22 Depth=1
                                        ; =>  This Inner Loop Header: Depth=2
	v_lshl_add_u32 v5, v8, 3, 0
	ds_read_b64 v[10:11], v5
	s_andn2_b64 s[18:19], s[18:19], exec
	s_andn2_b64 s[16:17], s[16:17], exec
	s_waitcnt lgkmcnt(0)
	v_cmp_ne_u64_e32 vcc, v[10:11], v[6:7]
	s_and_saveexec_b64 s[24:25], vcc
	s_cbranch_execz .LBB24_24
; %bb.26:                               ;   in Loop: Header=BB24_25 Depth=2
	v_cmp_ne_u64_e32 vcc, -1, v[10:11]
                                        ; implicit-def: $sgpr26_sgpr27
                                        ; implicit-def: $sgpr0_sgpr1
	s_and_saveexec_b64 s[28:29], vcc
	s_xor_b64 s[28:29], exec, s[28:29]
; %bb.27:                               ;   in Loop: Header=BB24_25 Depth=2
	v_add_u32_e32 v5, 1, v8
	v_and_b32_e32 v8, 0x1fff, v5
	s_mov_b64 s[0:1], -1
	s_and_b64 s[26:27], s[22:23], exec
                                        ; implicit-def: $vgpr5
; %bb.28:                               ;   in Loop: Header=BB24_25 Depth=2
	s_andn2_saveexec_b64 s[28:29], s[28:29]
	s_cbranch_execz .LBB24_23
; %bb.29:                               ;   in Loop: Header=BB24_25 Depth=2
	v_pk_mov_b32 v[10:11], -1, -1
	ds_cmpst_rtn_b64 v[10:11], v5, v[10:11], v[6:7]
	s_andn2_b64 s[30:31], s[0:1], exec
	s_andn2_b64 s[26:27], s[26:27], exec
	s_waitcnt lgkmcnt(0)
	v_cmp_eq_u64_e64 s[0:1], -1, v[10:11]
	v_cmp_ne_u64_e32 vcc, -1, v[10:11]
	s_or_b64 s[22:23], s[0:1], s[22:23]
	s_and_b64 s[0:1], vcc, exec
	s_and_b64 s[22:23], s[22:23], exec
	s_or_b64 s[0:1], s[30:31], s[0:1]
	s_or_b64 s[26:27], s[26:27], s[22:23]
	s_branch .LBB24_23
.LBB24_30:
	s_or_b64 exec, exec, s[12:13]
.LBB24_31:
	s_or_b64 exec, exec, s[6:7]
.LBB24_32:
	v_mov_b32_dpp v4, v2 row_shr:1 row_mask:0xf bank_mask:0xf
	v_add_co_u32_e32 v2, vcc, v2, v4
	v_mov_b32_dpp v5, v3 row_shr:1 row_mask:0xf bank_mask:0xf
	v_addc_co_u32_e32 v3, vcc, 0, v3, vcc
	v_add_co_u32_e32 v4, vcc, 0, v2
	v_addc_co_u32_e32 v3, vcc, v5, v3, vcc
	v_mov_b32_dpp v2, v2 row_shr:2 row_mask:0xf bank_mask:0xf
	v_add_co_u32_e32 v2, vcc, v4, v2
	v_mov_b32_dpp v5, v3 row_shr:2 row_mask:0xf bank_mask:0xf
	v_addc_co_u32_e32 v3, vcc, 0, v3, vcc
	v_add_co_u32_e32 v4, vcc, 0, v2
	v_addc_co_u32_e32 v3, vcc, v3, v5, vcc
	v_mov_b32_dpp v2, v2 row_shr:4 row_mask:0xf bank_mask:0xe
	s_nop 0
	v_mov_b32_dpp v5, v3 row_shr:4 row_mask:0xf bank_mask:0xe
	v_add_co_u32_e32 v2, vcc, v2, v4
	v_addc_co_u32_e32 v3, vcc, v5, v3, vcc
	s_nop 0
	v_mov_b32_dpp v4, v2 row_shr:8 row_mask:0xf bank_mask:0xc
	v_mov_b32_dpp v5, v3 row_shr:8 row_mask:0xf bank_mask:0xc
	v_add_co_u32_e32 v2, vcc, v4, v2
	v_addc_co_u32_e32 v3, vcc, v5, v3, vcc
	s_nop 0
	v_mov_b32_dpp v4, v2 row_bcast:15 row_mask:0xa bank_mask:0xf
	v_mov_b32_dpp v5, v3 row_bcast:15 row_mask:0xa bank_mask:0xf
	v_cmp_eq_u32_e32 vcc, 31, v14
	s_barrier
	s_and_saveexec_b64 s[0:1], vcc
	s_cbranch_execz .LBB24_34
; %bb.33:
	v_add_co_u32_e32 v2, vcc, v4, v2
	v_lshl_add_u32 v6, v15, 3, 0
	v_addc_co_u32_e32 v3, vcc, v5, v3, vcc
	ds_write_b64 v6, v[2:3]
.LBB24_34:
	s_or_b64 exec, exec, s[0:1]
	v_cmp_gt_u32_e32 vcc, 32, v0
	v_pk_mov_b32 v[2:3], 0, 0
	s_waitcnt lgkmcnt(0)
	s_barrier
	s_and_saveexec_b64 s[0:1], vcc
	s_cbranch_execz .LBB24_36
; %bb.35:
	ds_read_b64 v[2:3], v1
.LBB24_36:
	s_or_b64 exec, exec, s[0:1]
	s_waitcnt lgkmcnt(0)
	v_mov_b32_dpp v1, v2 row_shr:1 row_mask:0xf bank_mask:0xf
	v_add_u32_e32 v1, v2, v1
	v_cmp_eq_u32_e32 vcc, 31, v0
	s_nop 0
	v_mov_b32_dpp v2, v1 row_shr:2 row_mask:0xf bank_mask:0xf
	v_add_u32_e32 v1, v1, v2
	s_nop 1
	v_mov_b32_dpp v2, v1 row_shr:4 row_mask:0xf bank_mask:0xe
	v_add_u32_e32 v1, v1, v2
	;; [unrolled: 3-line block ×3, first 2 shown]
	s_nop 1
	v_mov_b32_dpp v2, v1 row_bcast:15 row_mask:0xa bank_mask:0xf
	s_and_saveexec_b64 s[0:1], vcc
	s_cbranch_execz .LBB24_38
; %bb.37:
	s_load_dwordx2 s[0:1], s[4:5], 0x40
	s_lshl_b64 s[2:3], s[2:3], 2
	v_mov_b32_e32 v0, 0
	v_add_u32_e32 v1, v2, v1
	s_waitcnt lgkmcnt(0)
	s_add_u32 s0, s0, s2
	s_addc_u32 s1, s1, s3
	global_store_dword v0, v1, s[0:1]
.LBB24_38:
	s_endpgm
	.section	.rodata,"a",@progbits
	.p2align	6, 0x0
	.amdhsa_kernel _ZN9rocsparseL25csrgemm_nnz_block_per_rowILj1024ELj32ELj8192ELj79EilEEvPKT4_S3_PKT3_S3_S6_S3_S6_S3_PS4_21rocsparse_index_base_S8_S8_bb
		.amdhsa_group_segment_fixed_size 0
		.amdhsa_private_segment_fixed_size 0
		.amdhsa_kernarg_size 88
		.amdhsa_user_sgpr_count 6
		.amdhsa_user_sgpr_private_segment_buffer 1
		.amdhsa_user_sgpr_dispatch_ptr 0
		.amdhsa_user_sgpr_queue_ptr 0
		.amdhsa_user_sgpr_kernarg_segment_ptr 1
		.amdhsa_user_sgpr_dispatch_id 0
		.amdhsa_user_sgpr_flat_scratch_init 0
		.amdhsa_user_sgpr_kernarg_preload_length 0
		.amdhsa_user_sgpr_kernarg_preload_offset 0
		.amdhsa_user_sgpr_private_segment_size 0
		.amdhsa_uses_dynamic_stack 0
		.amdhsa_system_sgpr_private_segment_wavefront_offset 0
		.amdhsa_system_sgpr_workgroup_id_x 1
		.amdhsa_system_sgpr_workgroup_id_y 0
		.amdhsa_system_sgpr_workgroup_id_z 0
		.amdhsa_system_sgpr_workgroup_info 0
		.amdhsa_system_vgpr_workitem_id 0
		.amdhsa_next_free_vgpr 19
		.amdhsa_next_free_sgpr 46
		.amdhsa_accum_offset 20
		.amdhsa_reserve_vcc 1
		.amdhsa_reserve_flat_scratch 0
		.amdhsa_float_round_mode_32 0
		.amdhsa_float_round_mode_16_64 0
		.amdhsa_float_denorm_mode_32 3
		.amdhsa_float_denorm_mode_16_64 3
		.amdhsa_dx10_clamp 1
		.amdhsa_ieee_mode 1
		.amdhsa_fp16_overflow 0
		.amdhsa_tg_split 0
		.amdhsa_exception_fp_ieee_invalid_op 0
		.amdhsa_exception_fp_denorm_src 0
		.amdhsa_exception_fp_ieee_div_zero 0
		.amdhsa_exception_fp_ieee_overflow 0
		.amdhsa_exception_fp_ieee_underflow 0
		.amdhsa_exception_fp_ieee_inexact 0
		.amdhsa_exception_int_div_zero 0
	.end_amdhsa_kernel
	.section	.text._ZN9rocsparseL25csrgemm_nnz_block_per_rowILj1024ELj32ELj8192ELj79EilEEvPKT4_S3_PKT3_S3_S6_S3_S6_S3_PS4_21rocsparse_index_base_S8_S8_bb,"axG",@progbits,_ZN9rocsparseL25csrgemm_nnz_block_per_rowILj1024ELj32ELj8192ELj79EilEEvPKT4_S3_PKT3_S3_S6_S3_S6_S3_PS4_21rocsparse_index_base_S8_S8_bb,comdat
.Lfunc_end24:
	.size	_ZN9rocsparseL25csrgemm_nnz_block_per_rowILj1024ELj32ELj8192ELj79EilEEvPKT4_S3_PKT3_S3_S6_S3_S6_S3_PS4_21rocsparse_index_base_S8_S8_bb, .Lfunc_end24-_ZN9rocsparseL25csrgemm_nnz_block_per_rowILj1024ELj32ELj8192ELj79EilEEvPKT4_S3_PKT3_S3_S6_S3_S6_S3_PS4_21rocsparse_index_base_S8_S8_bb
                                        ; -- End function
	.section	.AMDGPU.csdata,"",@progbits
; Kernel info:
; codeLenInByte = 1560
; NumSgprs: 50
; NumVgprs: 19
; NumAgprs: 0
; TotalNumVgprs: 19
; ScratchSize: 0
; MemoryBound: 0
; FloatMode: 240
; IeeeMode: 1
; LDSByteSize: 0 bytes/workgroup (compile time only)
; SGPRBlocks: 6
; VGPRBlocks: 2
; NumSGPRsForWavesPerEU: 50
; NumVGPRsForWavesPerEU: 19
; AccumOffset: 20
; Occupancy: 8
; WaveLimiterHint : 1
; COMPUTE_PGM_RSRC2:SCRATCH_EN: 0
; COMPUTE_PGM_RSRC2:USER_SGPR: 6
; COMPUTE_PGM_RSRC2:TRAP_HANDLER: 0
; COMPUTE_PGM_RSRC2:TGID_X_EN: 1
; COMPUTE_PGM_RSRC2:TGID_Y_EN: 0
; COMPUTE_PGM_RSRC2:TGID_Z_EN: 0
; COMPUTE_PGM_RSRC2:TIDIG_COMP_CNT: 0
; COMPUTE_PGM_RSRC3_GFX90A:ACCUM_OFFSET: 4
; COMPUTE_PGM_RSRC3_GFX90A:TG_SPLIT: 0
	.section	.text._ZN9rocsparseL25csrgemm_nnz_block_per_rowILj1024ELj32ELj16384ELj79EilEEvPKT4_S3_PKT3_S3_S6_S3_S6_S3_PS4_21rocsparse_index_base_S8_S8_bb,"axG",@progbits,_ZN9rocsparseL25csrgemm_nnz_block_per_rowILj1024ELj32ELj16384ELj79EilEEvPKT4_S3_PKT3_S3_S6_S3_S6_S3_PS4_21rocsparse_index_base_S8_S8_bb,comdat
	.globl	_ZN9rocsparseL25csrgemm_nnz_block_per_rowILj1024ELj32ELj16384ELj79EilEEvPKT4_S3_PKT3_S3_S6_S3_S6_S3_PS4_21rocsparse_index_base_S8_S8_bb ; -- Begin function _ZN9rocsparseL25csrgemm_nnz_block_per_rowILj1024ELj32ELj16384ELj79EilEEvPKT4_S3_PKT3_S3_S6_S3_S6_S3_PS4_21rocsparse_index_base_S8_S8_bb
	.p2align	8
	.type	_ZN9rocsparseL25csrgemm_nnz_block_per_rowILj1024ELj32ELj16384ELj79EilEEvPKT4_S3_PKT3_S3_S6_S3_S6_S3_PS4_21rocsparse_index_base_S8_S8_bb,@function
_ZN9rocsparseL25csrgemm_nnz_block_per_rowILj1024ELj32ELj16384ELj79EilEEvPKT4_S3_PKT3_S3_S6_S3_S6_S3_PS4_21rocsparse_index_base_S8_S8_bb: ; @_ZN9rocsparseL25csrgemm_nnz_block_per_rowILj1024ELj32ELj16384ELj79EilEEvPKT4_S3_PKT3_S3_S6_S3_S6_S3_PS4_21rocsparse_index_base_S8_S8_bb
; %bb.0:
	s_load_dwordx8 s[16:23], s[4:5], 0x0
	s_mov_b32 s7, 0
	v_mov_b32_e32 v2, -1
	v_or_b32_e32 v1, 0xfffffc00, v0
	v_lshl_add_u32 v4, v0, 3, 0
	s_waitcnt lgkmcnt(0)
	s_load_dwordx2 s[0:1], s[16:17], 0x0
	s_load_dwordx2 s[2:3], s[4:5], 0x40
	s_load_dwordx8 s[8:15], s[4:5], 0x20
	v_mov_b32_e32 v3, v2
	s_waitcnt lgkmcnt(0)
	s_lshl_b64 s[0:1], s[0:1], 3
	s_add_u32 s16, s18, s0
	s_addc_u32 s17, s19, s1
	s_lshl_b64 s[0:1], s[6:7], 3
	s_add_u32 s0, s16, s0
	s_addc_u32 s1, s17, s1
	s_load_dwordx2 s[6:7], s[0:1], 0x0
	s_mov_b64 s[0:1], 0
	s_movk_i32 s16, 0x3bff
.LBB25_1:                               ; =>This Inner Loop Header: Depth=1
	v_add_u32_e32 v1, 0x400, v1
	v_cmp_lt_u32_e32 vcc, s16, v1
	ds_write_b64 v4, v[2:3]
	s_or_b64 s[0:1], vcc, s[0:1]
	v_add_u32_e32 v4, 0x2000, v4
	s_andn2_b64 exec, exec, s[0:1]
	s_cbranch_execnz .LBB25_1
; %bb.2:
	s_or_b64 exec, exec, s[0:1]
	s_load_dwordx4 s[16:19], s[4:5], 0x48
	v_and_b32_e32 v14, 31, v0
	v_lshrrev_b32_e32 v1, 5, v0
	v_pk_mov_b32 v[2:3], 0, 0
	s_waitcnt lgkmcnt(0)
	s_bitcmp1_b32 s19, 0
	s_cselect_b64 s[0:1], -1, 0
	s_and_b64 vcc, exec, s[0:1]
	s_barrier
	s_cbranch_vccz .LBB25_20
; %bb.3:
	s_lshl_b64 s[0:1], s[6:7], 2
	s_add_u32 s0, s20, s0
	s_addc_u32 s1, s21, s1
	s_load_dwordx2 s[0:1], s[0:1], 0x0
	v_subrev_u32_e32 v2, s16, v1
	s_waitcnt lgkmcnt(0)
	s_sub_i32 s19, s1, s16
	v_add_u32_e32 v4, s0, v2
	v_cmp_gt_i32_e32 vcc, s19, v4
	v_pk_mov_b32 v[2:3], 0, 0
	s_and_saveexec_b64 s[20:21], vcc
	s_cbranch_execz .LBB25_19
; %bb.4:
	s_mov_b32 s0, 0
	v_subrev_u32_e32 v11, s17, v14
	s_mov_b32 s33, s17
	s_mov_b32 s48, s0
	s_mov_b64 s[24:25], 0
	v_pk_mov_b32 v[2:3], 0, 0
	v_mov_b32_e32 v15, s23
	v_mov_b32_e32 v16, s0
	;; [unrolled: 1-line block ×3, first 2 shown]
	s_movk_i32 s9, 0x4f
	s_branch .LBB25_7
.LBB25_5:                               ;   in Loop: Header=BB25_7 Depth=1
	s_or_b64 exec, exec, s[28:29]
.LBB25_6:                               ;   in Loop: Header=BB25_7 Depth=1
	s_or_b64 exec, exec, s[26:27]
	v_add_u32_e32 v4, 32, v4
	v_cmp_le_i32_e32 vcc, s19, v4
	s_or_b64 s[24:25], vcc, s[24:25]
	s_andn2_b64 exec, exec, s[24:25]
	s_cbranch_execz .LBB25_18
.LBB25_7:                               ; =>This Loop Header: Depth=1
                                        ;     Child Loop BB25_10 Depth 2
                                        ;       Child Loop BB25_13 Depth 3
	v_ashrrev_i32_e32 v5, 31, v4
	v_lshlrev_b64 v[6:7], 3, v[4:5]
	v_add_co_u32_e32 v6, vcc, s22, v6
	v_addc_co_u32_e32 v7, vcc, v15, v7, vcc
	global_load_dwordx2 v[6:7], v[6:7], off
	s_waitcnt vmcnt(0)
	v_subrev_co_u32_e32 v6, vcc, s16, v6
	v_subb_co_u32_e32 v7, vcc, v7, v16, vcc
	v_lshlrev_b64 v[6:7], 2, v[6:7]
	v_add_co_u32_e32 v6, vcc, s8, v6
	v_addc_co_u32_e32 v7, vcc, v17, v7, vcc
	global_load_dwordx2 v[6:7], v[6:7], off
	s_waitcnt vmcnt(0)
	v_subrev_u32_e32 v5, s17, v7
	v_add_u32_e32 v6, v11, v6
	v_cmp_lt_i32_e32 vcc, v6, v5
	s_and_saveexec_b64 s[26:27], vcc
	s_cbranch_execz .LBB25_6
; %bb.8:                                ;   in Loop: Header=BB25_7 Depth=1
	s_mov_b64 s[28:29], 0
	s_branch .LBB25_10
.LBB25_9:                               ;   in Loop: Header=BB25_10 Depth=2
	s_or_b64 exec, exec, s[38:39]
	v_add_u32_e32 v6, 32, v6
	v_cndmask_b32_e64 v7, 0, 1, s[30:31]
	v_cmp_ge_i32_e32 vcc, v6, v5
	s_or_b64 s[28:29], vcc, s[28:29]
	v_add_co_u32_e32 v2, vcc, v2, v7
	v_addc_co_u32_e32 v3, vcc, 0, v3, vcc
	s_andn2_b64 exec, exec, s[28:29]
	s_cbranch_execz .LBB25_5
.LBB25_10:                              ;   Parent Loop BB25_7 Depth=1
                                        ; =>  This Loop Header: Depth=2
                                        ;       Child Loop BB25_13 Depth 3
	v_ashrrev_i32_e32 v7, 31, v6
	v_lshlrev_b64 v[8:9], 3, v[6:7]
	v_mov_b32_e32 v7, s11
	v_add_co_u32_e32 v8, vcc, s10, v8
	v_addc_co_u32_e32 v9, vcc, v7, v9, vcc
	global_load_dwordx2 v[8:9], v[8:9], off
	v_mov_b32_e32 v7, s48
	s_mov_b64 s[38:39], 0
                                        ; implicit-def: $sgpr30_sgpr31
                                        ; implicit-def: $sgpr34_sgpr35
                                        ; implicit-def: $sgpr36_sgpr37
                                        ; implicit-def: $sgpr40_sgpr41
	s_waitcnt vmcnt(0)
	v_subrev_co_u32_e32 v8, vcc, s33, v8
	v_subb_co_u32_e32 v9, vcc, v9, v7, vcc
	v_mul_lo_u32 v7, v8, s9
	v_and_b32_e32 v10, 0x3fff, v7
	s_branch .LBB25_13
.LBB25_11:                              ;   in Loop: Header=BB25_13 Depth=3
	s_or_b64 exec, exec, s[46:47]
	s_andn2_b64 s[36:37], s[36:37], exec
	s_and_b64 s[40:41], s[44:45], exec
	s_andn2_b64 s[34:35], s[34:35], exec
	s_and_b64 s[0:1], s[0:1], exec
	s_or_b64 s[36:37], s[36:37], s[40:41]
	s_or_b64 s[34:35], s[34:35], s[0:1]
                                        ; implicit-def: $sgpr40_sgpr41
.LBB25_12:                              ;   in Loop: Header=BB25_13 Depth=3
	s_or_b64 exec, exec, s[42:43]
	s_xor_b64 s[0:1], s[34:35], -1
	s_and_b64 s[0:1], exec, s[0:1]
	s_or_b64 s[38:39], s[0:1], s[38:39]
	s_andn2_b64 s[0:1], s[40:41], exec
	s_and_b64 s[42:43], s[36:37], exec
	s_or_b64 s[40:41], s[0:1], s[42:43]
	s_andn2_b64 s[0:1], s[30:31], exec
	s_or_b64 s[30:31], s[0:1], s[42:43]
	s_andn2_b64 exec, exec, s[38:39]
	s_cbranch_execz .LBB25_9
.LBB25_13:                              ;   Parent Loop BB25_7 Depth=1
                                        ;     Parent Loop BB25_10 Depth=2
                                        ; =>    This Inner Loop Header: Depth=3
	v_lshl_add_u32 v7, v10, 3, 0
	ds_read_b64 v[12:13], v7
	s_andn2_b64 s[36:37], s[36:37], exec
	s_andn2_b64 s[34:35], s[34:35], exec
	s_waitcnt lgkmcnt(0)
	v_cmp_ne_u64_e32 vcc, v[12:13], v[8:9]
	s_and_saveexec_b64 s[42:43], vcc
	s_cbranch_execz .LBB25_12
; %bb.14:                               ;   in Loop: Header=BB25_13 Depth=3
	v_cmp_ne_u64_e32 vcc, -1, v[12:13]
                                        ; implicit-def: $sgpr44_sgpr45
                                        ; implicit-def: $sgpr0_sgpr1
	s_and_saveexec_b64 s[46:47], vcc
	s_xor_b64 s[46:47], exec, s[46:47]
; %bb.15:                               ;   in Loop: Header=BB25_13 Depth=3
	v_add_u32_e32 v7, 1, v10
	v_and_b32_e32 v10, 0x3fff, v7
	s_mov_b64 s[0:1], -1
	s_and_b64 s[44:45], s[40:41], exec
                                        ; implicit-def: $vgpr7
; %bb.16:                               ;   in Loop: Header=BB25_13 Depth=3
	s_andn2_saveexec_b64 s[46:47], s[46:47]
	s_cbranch_execz .LBB25_11
; %bb.17:                               ;   in Loop: Header=BB25_13 Depth=3
	v_pk_mov_b32 v[12:13], -1, -1
	ds_cmpst_rtn_b64 v[12:13], v7, v[12:13], v[8:9]
	s_andn2_b64 s[50:51], s[0:1], exec
	s_andn2_b64 s[44:45], s[44:45], exec
	s_waitcnt lgkmcnt(0)
	v_cmp_eq_u64_e64 s[0:1], -1, v[12:13]
	v_cmp_ne_u64_e32 vcc, -1, v[12:13]
	s_or_b64 s[40:41], s[0:1], s[40:41]
	s_and_b64 s[0:1], vcc, exec
	s_and_b64 s[40:41], s[40:41], exec
	s_or_b64 s[0:1], s[50:51], s[0:1]
	s_or_b64 s[44:45], s[44:45], s[40:41]
	s_branch .LBB25_11
.LBB25_18:
	s_or_b64 exec, exec, s[24:25]
.LBB25_19:
	s_or_b64 exec, exec, s[20:21]
.LBB25_20:
	s_load_dword s0, s[4:5], 0x54
	s_waitcnt lgkmcnt(0)
	s_bfe_u32 s0, s0, 0x10008
	s_cmp_eq_u32 s0, 0
	s_cbranch_scc1 .LBB25_34
; %bb.21:
	s_lshl_b64 s[0:1], s[6:7], 2
	s_add_u32 s0, s12, s0
	s_addc_u32 s1, s13, s1
	s_load_dwordx2 s[0:1], s[0:1], 0x0
	v_subrev_u32_e32 v4, s18, v1
	s_waitcnt lgkmcnt(0)
	s_sub_i32 s19, s1, s18
	v_add_u32_e32 v4, s0, v4
	v_cmp_gt_i32_e32 vcc, s19, v4
	s_and_saveexec_b64 s[4:5], vcc
	s_cbranch_execz .LBB25_33
; %bb.22:
	s_mov_b32 s0, 0
	s_mov_b64 s[8:9], 0
	v_mov_b32_e32 v9, s15
	v_mov_b32_e32 v12, s0
	s_movk_i32 s15, 0x4f
	s_branch .LBB25_24
.LBB25_23:                              ;   in Loop: Header=BB25_24 Depth=1
	s_or_b64 exec, exec, s[20:21]
	v_add_u32_e32 v4, 32, v4
	v_cndmask_b32_e64 v5, 0, 1, s[10:11]
	v_cmp_le_i32_e32 vcc, s19, v4
	s_or_b64 s[8:9], vcc, s[8:9]
	v_add_co_u32_e32 v2, vcc, v2, v5
	v_addc_co_u32_e32 v3, vcc, 0, v3, vcc
	s_andn2_b64 exec, exec, s[8:9]
	s_cbranch_execz .LBB25_32
.LBB25_24:                              ; =>This Loop Header: Depth=1
                                        ;     Child Loop BB25_27 Depth 2
	v_ashrrev_i32_e32 v5, 31, v4
	v_lshlrev_b64 v[6:7], 3, v[4:5]
	v_add_co_u32_e32 v6, vcc, s14, v6
	v_addc_co_u32_e32 v7, vcc, v9, v7, vcc
	global_load_dwordx2 v[6:7], v[6:7], off
	s_mov_b64 s[20:21], 0
                                        ; implicit-def: $sgpr10_sgpr11
                                        ; implicit-def: $sgpr12_sgpr13
                                        ; implicit-def: $sgpr16_sgpr17
                                        ; implicit-def: $sgpr22_sgpr23
	s_waitcnt vmcnt(0)
	v_subrev_co_u32_e32 v6, vcc, s18, v6
	v_mul_lo_u32 v5, v6, s15
	v_subb_co_u32_e32 v7, vcc, v7, v12, vcc
	v_and_b32_e32 v8, 0x3fff, v5
	s_branch .LBB25_27
.LBB25_25:                              ;   in Loop: Header=BB25_27 Depth=2
	s_or_b64 exec, exec, s[28:29]
	s_andn2_b64 s[16:17], s[16:17], exec
	s_and_b64 s[22:23], s[26:27], exec
	s_andn2_b64 s[12:13], s[12:13], exec
	s_and_b64 s[0:1], s[0:1], exec
	s_or_b64 s[16:17], s[16:17], s[22:23]
	s_or_b64 s[12:13], s[12:13], s[0:1]
                                        ; implicit-def: $sgpr22_sgpr23
.LBB25_26:                              ;   in Loop: Header=BB25_27 Depth=2
	s_or_b64 exec, exec, s[24:25]
	s_xor_b64 s[0:1], s[12:13], -1
	s_and_b64 s[0:1], exec, s[0:1]
	s_or_b64 s[20:21], s[0:1], s[20:21]
	s_andn2_b64 s[0:1], s[22:23], exec
	s_and_b64 s[24:25], s[16:17], exec
	s_or_b64 s[22:23], s[0:1], s[24:25]
	s_andn2_b64 s[0:1], s[10:11], exec
	s_or_b64 s[10:11], s[0:1], s[24:25]
	s_andn2_b64 exec, exec, s[20:21]
	s_cbranch_execz .LBB25_23
.LBB25_27:                              ;   Parent Loop BB25_24 Depth=1
                                        ; =>  This Inner Loop Header: Depth=2
	v_lshl_add_u32 v5, v8, 3, 0
	ds_read_b64 v[10:11], v5
	s_andn2_b64 s[16:17], s[16:17], exec
	s_andn2_b64 s[12:13], s[12:13], exec
	s_waitcnt lgkmcnt(0)
	v_cmp_ne_u64_e32 vcc, v[10:11], v[6:7]
	s_and_saveexec_b64 s[24:25], vcc
	s_cbranch_execz .LBB25_26
; %bb.28:                               ;   in Loop: Header=BB25_27 Depth=2
	v_cmp_ne_u64_e32 vcc, -1, v[10:11]
                                        ; implicit-def: $sgpr26_sgpr27
                                        ; implicit-def: $sgpr0_sgpr1
	s_and_saveexec_b64 s[28:29], vcc
	s_xor_b64 s[28:29], exec, s[28:29]
; %bb.29:                               ;   in Loop: Header=BB25_27 Depth=2
	v_add_u32_e32 v5, 1, v8
	v_and_b32_e32 v8, 0x3fff, v5
	s_mov_b64 s[0:1], -1
	s_and_b64 s[26:27], s[22:23], exec
                                        ; implicit-def: $vgpr5
; %bb.30:                               ;   in Loop: Header=BB25_27 Depth=2
	s_andn2_saveexec_b64 s[28:29], s[28:29]
	s_cbranch_execz .LBB25_25
; %bb.31:                               ;   in Loop: Header=BB25_27 Depth=2
	v_pk_mov_b32 v[10:11], -1, -1
	ds_cmpst_rtn_b64 v[10:11], v5, v[10:11], v[6:7]
	s_andn2_b64 s[30:31], s[0:1], exec
	s_andn2_b64 s[26:27], s[26:27], exec
	s_waitcnt lgkmcnt(0)
	v_cmp_eq_u64_e64 s[0:1], -1, v[10:11]
	v_cmp_ne_u64_e32 vcc, -1, v[10:11]
	s_or_b64 s[22:23], s[0:1], s[22:23]
	s_and_b64 s[0:1], vcc, exec
	s_and_b64 s[22:23], s[22:23], exec
	s_or_b64 s[0:1], s[30:31], s[0:1]
	s_or_b64 s[26:27], s[26:27], s[22:23]
	s_branch .LBB25_25
.LBB25_32:
	s_or_b64 exec, exec, s[8:9]
.LBB25_33:
	s_or_b64 exec, exec, s[4:5]
.LBB25_34:
	v_mov_b32_dpp v4, v2 row_shr:1 row_mask:0xf bank_mask:0xf
	v_add_co_u32_e32 v2, vcc, v2, v4
	v_mov_b32_dpp v5, v3 row_shr:1 row_mask:0xf bank_mask:0xf
	v_addc_co_u32_e32 v3, vcc, 0, v3, vcc
	v_add_co_u32_e32 v4, vcc, 0, v2
	v_addc_co_u32_e32 v3, vcc, v5, v3, vcc
	v_mov_b32_dpp v2, v2 row_shr:2 row_mask:0xf bank_mask:0xf
	v_add_co_u32_e32 v2, vcc, v4, v2
	v_mov_b32_dpp v5, v3 row_shr:2 row_mask:0xf bank_mask:0xf
	v_addc_co_u32_e32 v3, vcc, 0, v3, vcc
	v_add_co_u32_e32 v4, vcc, 0, v2
	v_addc_co_u32_e32 v3, vcc, v3, v5, vcc
	v_mov_b32_dpp v2, v2 row_shr:4 row_mask:0xf bank_mask:0xe
	s_nop 0
	v_mov_b32_dpp v5, v3 row_shr:4 row_mask:0xf bank_mask:0xe
	v_add_co_u32_e32 v2, vcc, v2, v4
	v_addc_co_u32_e32 v3, vcc, v5, v3, vcc
	s_nop 0
	v_mov_b32_dpp v4, v2 row_shr:8 row_mask:0xf bank_mask:0xc
	v_mov_b32_dpp v5, v3 row_shr:8 row_mask:0xf bank_mask:0xc
	v_add_co_u32_e32 v2, vcc, v4, v2
	v_addc_co_u32_e32 v3, vcc, v5, v3, vcc
	s_nop 0
	v_mov_b32_dpp v4, v2 row_bcast:15 row_mask:0xa bank_mask:0xf
	v_mov_b32_dpp v5, v3 row_bcast:15 row_mask:0xa bank_mask:0xf
	v_cmp_eq_u32_e32 vcc, 31, v14
	s_barrier
	s_and_saveexec_b64 s[0:1], vcc
	s_cbranch_execz .LBB25_36
; %bb.35:
	v_add_co_u32_e32 v2, vcc, v4, v2
	v_lshl_add_u32 v1, v1, 3, 0
	v_addc_co_u32_e32 v3, vcc, v5, v3, vcc
	ds_write_b64 v1, v[2:3]
.LBB25_36:
	s_or_b64 exec, exec, s[0:1]
	v_cmp_gt_u32_e32 vcc, 32, v0
	v_pk_mov_b32 v[2:3], 0, 0
	s_waitcnt lgkmcnt(0)
	s_barrier
	s_and_saveexec_b64 s[0:1], vcc
	s_cbranch_execz .LBB25_38
; %bb.37:
	v_lshl_add_u32 v1, v0, 3, 0
	ds_read_b64 v[2:3], v1
.LBB25_38:
	s_or_b64 exec, exec, s[0:1]
	s_waitcnt lgkmcnt(0)
	v_mov_b32_dpp v1, v2 row_shr:1 row_mask:0xf bank_mask:0xf
	v_add_u32_e32 v1, v2, v1
	v_cmp_eq_u32_e32 vcc, 31, v0
	s_nop 0
	v_mov_b32_dpp v2, v1 row_shr:2 row_mask:0xf bank_mask:0xf
	v_add_u32_e32 v1, v1, v2
	s_nop 1
	v_mov_b32_dpp v2, v1 row_shr:4 row_mask:0xf bank_mask:0xe
	v_add_u32_e32 v1, v1, v2
	;; [unrolled: 3-line block ×3, first 2 shown]
	s_nop 1
	v_mov_b32_dpp v2, v1 row_bcast:15 row_mask:0xa bank_mask:0xf
	s_and_saveexec_b64 s[0:1], vcc
	s_cbranch_execz .LBB25_40
; %bb.39:
	s_lshl_b64 s[0:1], s[6:7], 2
	s_add_u32 s0, s2, s0
	s_addc_u32 s1, s3, s1
	v_mov_b32_e32 v0, 0
	v_add_u32_e32 v1, v2, v1
	global_store_dword v0, v1, s[0:1]
.LBB25_40:
	s_endpgm
	.section	.rodata,"a",@progbits
	.p2align	6, 0x0
	.amdhsa_kernel _ZN9rocsparseL25csrgemm_nnz_block_per_rowILj1024ELj32ELj16384ELj79EilEEvPKT4_S3_PKT3_S3_S6_S3_S6_S3_PS4_21rocsparse_index_base_S8_S8_bb
		.amdhsa_group_segment_fixed_size 0
		.amdhsa_private_segment_fixed_size 0
		.amdhsa_kernarg_size 88
		.amdhsa_user_sgpr_count 6
		.amdhsa_user_sgpr_private_segment_buffer 1
		.amdhsa_user_sgpr_dispatch_ptr 0
		.amdhsa_user_sgpr_queue_ptr 0
		.amdhsa_user_sgpr_kernarg_segment_ptr 1
		.amdhsa_user_sgpr_dispatch_id 0
		.amdhsa_user_sgpr_flat_scratch_init 0
		.amdhsa_user_sgpr_kernarg_preload_length 0
		.amdhsa_user_sgpr_kernarg_preload_offset 0
		.amdhsa_user_sgpr_private_segment_size 0
		.amdhsa_uses_dynamic_stack 0
		.amdhsa_system_sgpr_private_segment_wavefront_offset 0
		.amdhsa_system_sgpr_workgroup_id_x 1
		.amdhsa_system_sgpr_workgroup_id_y 0
		.amdhsa_system_sgpr_workgroup_id_z 0
		.amdhsa_system_sgpr_workgroup_info 0
		.amdhsa_system_vgpr_workitem_id 0
		.amdhsa_next_free_vgpr 18
		.amdhsa_next_free_sgpr 52
		.amdhsa_accum_offset 20
		.amdhsa_reserve_vcc 1
		.amdhsa_reserve_flat_scratch 0
		.amdhsa_float_round_mode_32 0
		.amdhsa_float_round_mode_16_64 0
		.amdhsa_float_denorm_mode_32 3
		.amdhsa_float_denorm_mode_16_64 3
		.amdhsa_dx10_clamp 1
		.amdhsa_ieee_mode 1
		.amdhsa_fp16_overflow 0
		.amdhsa_tg_split 0
		.amdhsa_exception_fp_ieee_invalid_op 0
		.amdhsa_exception_fp_denorm_src 0
		.amdhsa_exception_fp_ieee_div_zero 0
		.amdhsa_exception_fp_ieee_overflow 0
		.amdhsa_exception_fp_ieee_underflow 0
		.amdhsa_exception_fp_ieee_inexact 0
		.amdhsa_exception_int_div_zero 0
	.end_amdhsa_kernel
	.section	.text._ZN9rocsparseL25csrgemm_nnz_block_per_rowILj1024ELj32ELj16384ELj79EilEEvPKT4_S3_PKT3_S3_S6_S3_S6_S3_PS4_21rocsparse_index_base_S8_S8_bb,"axG",@progbits,_ZN9rocsparseL25csrgemm_nnz_block_per_rowILj1024ELj32ELj16384ELj79EilEEvPKT4_S3_PKT3_S3_S6_S3_S6_S3_PS4_21rocsparse_index_base_S8_S8_bb,comdat
.Lfunc_end25:
	.size	_ZN9rocsparseL25csrgemm_nnz_block_per_rowILj1024ELj32ELj16384ELj79EilEEvPKT4_S3_PKT3_S3_S6_S3_S6_S3_PS4_21rocsparse_index_base_S8_S8_bb, .Lfunc_end25-_ZN9rocsparseL25csrgemm_nnz_block_per_rowILj1024ELj32ELj16384ELj79EilEEvPKT4_S3_PKT3_S3_S6_S3_S6_S3_PS4_21rocsparse_index_base_S8_S8_bb
                                        ; -- End function
	.section	.AMDGPU.csdata,"",@progbits
; Kernel info:
; codeLenInByte = 1544
; NumSgprs: 56
; NumVgprs: 18
; NumAgprs: 0
; TotalNumVgprs: 18
; ScratchSize: 0
; MemoryBound: 0
; FloatMode: 240
; IeeeMode: 1
; LDSByteSize: 0 bytes/workgroup (compile time only)
; SGPRBlocks: 6
; VGPRBlocks: 2
; NumSGPRsForWavesPerEU: 56
; NumVGPRsForWavesPerEU: 18
; AccumOffset: 20
; Occupancy: 8
; WaveLimiterHint : 1
; COMPUTE_PGM_RSRC2:SCRATCH_EN: 0
; COMPUTE_PGM_RSRC2:USER_SGPR: 6
; COMPUTE_PGM_RSRC2:TRAP_HANDLER: 0
; COMPUTE_PGM_RSRC2:TGID_X_EN: 1
; COMPUTE_PGM_RSRC2:TGID_Y_EN: 0
; COMPUTE_PGM_RSRC2:TGID_Z_EN: 0
; COMPUTE_PGM_RSRC2:TIDIG_COMP_CNT: 0
; COMPUTE_PGM_RSRC3_GFX90A:ACCUM_OFFSET: 4
; COMPUTE_PGM_RSRC3_GFX90A:TG_SPLIT: 0
	.section	.text._ZN9rocsparseL25csrgemm_nnz_block_per_rowILj1024ELj32ELj32768ELj79EilEEvPKT4_S3_PKT3_S3_S6_S3_S6_S3_PS4_21rocsparse_index_base_S8_S8_bb,"axG",@progbits,_ZN9rocsparseL25csrgemm_nnz_block_per_rowILj1024ELj32ELj32768ELj79EilEEvPKT4_S3_PKT3_S3_S6_S3_S6_S3_PS4_21rocsparse_index_base_S8_S8_bb,comdat
	.globl	_ZN9rocsparseL25csrgemm_nnz_block_per_rowILj1024ELj32ELj32768ELj79EilEEvPKT4_S3_PKT3_S3_S6_S3_S6_S3_PS4_21rocsparse_index_base_S8_S8_bb ; -- Begin function _ZN9rocsparseL25csrgemm_nnz_block_per_rowILj1024ELj32ELj32768ELj79EilEEvPKT4_S3_PKT3_S3_S6_S3_S6_S3_PS4_21rocsparse_index_base_S8_S8_bb
	.p2align	8
	.type	_ZN9rocsparseL25csrgemm_nnz_block_per_rowILj1024ELj32ELj32768ELj79EilEEvPKT4_S3_PKT3_S3_S6_S3_S6_S3_PS4_21rocsparse_index_base_S8_S8_bb,@function
_ZN9rocsparseL25csrgemm_nnz_block_per_rowILj1024ELj32ELj32768ELj79EilEEvPKT4_S3_PKT3_S3_S6_S3_S6_S3_PS4_21rocsparse_index_base_S8_S8_bb: ; @_ZN9rocsparseL25csrgemm_nnz_block_per_rowILj1024ELj32ELj32768ELj79EilEEvPKT4_S3_PKT3_S3_S6_S3_S6_S3_PS4_21rocsparse_index_base_S8_S8_bb
; %bb.0:
	s_load_dwordx8 s[16:23], s[4:5], 0x0
	s_mov_b32 s7, 0
	v_mov_b32_e32 v2, -1
	v_or_b32_e32 v1, 0xfffffc00, v0
	v_lshl_add_u32 v4, v0, 3, 0
	s_waitcnt lgkmcnt(0)
	s_load_dwordx2 s[0:1], s[16:17], 0x0
	s_load_dwordx2 s[2:3], s[4:5], 0x40
	s_load_dwordx8 s[8:15], s[4:5], 0x20
	v_mov_b32_e32 v3, v2
	s_waitcnt lgkmcnt(0)
	s_lshl_b64 s[0:1], s[0:1], 3
	s_add_u32 s16, s18, s0
	s_addc_u32 s17, s19, s1
	s_lshl_b64 s[0:1], s[6:7], 3
	s_add_u32 s0, s16, s0
	s_addc_u32 s1, s17, s1
	s_load_dwordx2 s[6:7], s[0:1], 0x0
	s_mov_b64 s[0:1], 0
	s_movk_i32 s16, 0x7bff
.LBB26_1:                               ; =>This Inner Loop Header: Depth=1
	v_add_u32_e32 v1, 0x400, v1
	v_cmp_lt_u32_e32 vcc, s16, v1
	ds_write_b64 v4, v[2:3]
	s_or_b64 s[0:1], vcc, s[0:1]
	v_add_u32_e32 v4, 0x2000, v4
	s_andn2_b64 exec, exec, s[0:1]
	s_cbranch_execnz .LBB26_1
; %bb.2:
	s_or_b64 exec, exec, s[0:1]
	s_load_dwordx4 s[16:19], s[4:5], 0x48
	v_and_b32_e32 v14, 31, v0
	v_lshrrev_b32_e32 v1, 5, v0
	v_pk_mov_b32 v[2:3], 0, 0
	s_waitcnt lgkmcnt(0)
	s_bitcmp1_b32 s19, 0
	s_cselect_b64 s[0:1], -1, 0
	s_and_b64 vcc, exec, s[0:1]
	s_barrier
	s_cbranch_vccz .LBB26_20
; %bb.3:
	s_lshl_b64 s[0:1], s[6:7], 2
	s_add_u32 s0, s20, s0
	s_addc_u32 s1, s21, s1
	s_load_dwordx2 s[0:1], s[0:1], 0x0
	v_subrev_u32_e32 v2, s16, v1
	s_waitcnt lgkmcnt(0)
	s_sub_i32 s19, s1, s16
	v_add_u32_e32 v4, s0, v2
	v_cmp_gt_i32_e32 vcc, s19, v4
	v_pk_mov_b32 v[2:3], 0, 0
	s_and_saveexec_b64 s[20:21], vcc
	s_cbranch_execz .LBB26_19
; %bb.4:
	s_mov_b32 s0, 0
	v_subrev_u32_e32 v11, s17, v14
	s_mov_b32 s33, s17
	s_mov_b32 s48, s0
	s_mov_b64 s[24:25], 0
	v_pk_mov_b32 v[2:3], 0, 0
	v_mov_b32_e32 v15, s23
	v_mov_b32_e32 v16, s0
	;; [unrolled: 1-line block ×3, first 2 shown]
	s_movk_i32 s9, 0x4f
	s_branch .LBB26_7
.LBB26_5:                               ;   in Loop: Header=BB26_7 Depth=1
	s_or_b64 exec, exec, s[28:29]
.LBB26_6:                               ;   in Loop: Header=BB26_7 Depth=1
	s_or_b64 exec, exec, s[26:27]
	v_add_u32_e32 v4, 32, v4
	v_cmp_le_i32_e32 vcc, s19, v4
	s_or_b64 s[24:25], vcc, s[24:25]
	s_andn2_b64 exec, exec, s[24:25]
	s_cbranch_execz .LBB26_18
.LBB26_7:                               ; =>This Loop Header: Depth=1
                                        ;     Child Loop BB26_10 Depth 2
                                        ;       Child Loop BB26_13 Depth 3
	v_ashrrev_i32_e32 v5, 31, v4
	v_lshlrev_b64 v[6:7], 3, v[4:5]
	v_add_co_u32_e32 v6, vcc, s22, v6
	v_addc_co_u32_e32 v7, vcc, v15, v7, vcc
	global_load_dwordx2 v[6:7], v[6:7], off
	s_waitcnt vmcnt(0)
	v_subrev_co_u32_e32 v6, vcc, s16, v6
	v_subb_co_u32_e32 v7, vcc, v7, v16, vcc
	v_lshlrev_b64 v[6:7], 2, v[6:7]
	v_add_co_u32_e32 v6, vcc, s8, v6
	v_addc_co_u32_e32 v7, vcc, v17, v7, vcc
	global_load_dwordx2 v[6:7], v[6:7], off
	s_waitcnt vmcnt(0)
	v_subrev_u32_e32 v5, s17, v7
	v_add_u32_e32 v6, v11, v6
	v_cmp_lt_i32_e32 vcc, v6, v5
	s_and_saveexec_b64 s[26:27], vcc
	s_cbranch_execz .LBB26_6
; %bb.8:                                ;   in Loop: Header=BB26_7 Depth=1
	s_mov_b64 s[28:29], 0
	s_branch .LBB26_10
.LBB26_9:                               ;   in Loop: Header=BB26_10 Depth=2
	s_or_b64 exec, exec, s[38:39]
	v_add_u32_e32 v6, 32, v6
	v_cndmask_b32_e64 v7, 0, 1, s[30:31]
	v_cmp_ge_i32_e32 vcc, v6, v5
	s_or_b64 s[28:29], vcc, s[28:29]
	v_add_co_u32_e32 v2, vcc, v2, v7
	v_addc_co_u32_e32 v3, vcc, 0, v3, vcc
	s_andn2_b64 exec, exec, s[28:29]
	s_cbranch_execz .LBB26_5
.LBB26_10:                              ;   Parent Loop BB26_7 Depth=1
                                        ; =>  This Loop Header: Depth=2
                                        ;       Child Loop BB26_13 Depth 3
	v_ashrrev_i32_e32 v7, 31, v6
	v_lshlrev_b64 v[8:9], 3, v[6:7]
	v_mov_b32_e32 v7, s11
	v_add_co_u32_e32 v8, vcc, s10, v8
	v_addc_co_u32_e32 v9, vcc, v7, v9, vcc
	global_load_dwordx2 v[8:9], v[8:9], off
	v_mov_b32_e32 v7, s48
	s_mov_b64 s[38:39], 0
                                        ; implicit-def: $sgpr30_sgpr31
                                        ; implicit-def: $sgpr34_sgpr35
                                        ; implicit-def: $sgpr36_sgpr37
                                        ; implicit-def: $sgpr40_sgpr41
	s_waitcnt vmcnt(0)
	v_subrev_co_u32_e32 v8, vcc, s33, v8
	v_subb_co_u32_e32 v9, vcc, v9, v7, vcc
	v_mul_lo_u32 v7, v8, s9
	v_and_b32_e32 v10, 0x7fff, v7
	s_branch .LBB26_13
.LBB26_11:                              ;   in Loop: Header=BB26_13 Depth=3
	s_or_b64 exec, exec, s[46:47]
	s_andn2_b64 s[36:37], s[36:37], exec
	s_and_b64 s[40:41], s[44:45], exec
	s_andn2_b64 s[34:35], s[34:35], exec
	s_and_b64 s[0:1], s[0:1], exec
	s_or_b64 s[36:37], s[36:37], s[40:41]
	s_or_b64 s[34:35], s[34:35], s[0:1]
                                        ; implicit-def: $sgpr40_sgpr41
.LBB26_12:                              ;   in Loop: Header=BB26_13 Depth=3
	s_or_b64 exec, exec, s[42:43]
	s_xor_b64 s[0:1], s[34:35], -1
	s_and_b64 s[0:1], exec, s[0:1]
	s_or_b64 s[38:39], s[0:1], s[38:39]
	s_andn2_b64 s[0:1], s[40:41], exec
	s_and_b64 s[42:43], s[36:37], exec
	s_or_b64 s[40:41], s[0:1], s[42:43]
	s_andn2_b64 s[0:1], s[30:31], exec
	s_or_b64 s[30:31], s[0:1], s[42:43]
	s_andn2_b64 exec, exec, s[38:39]
	s_cbranch_execz .LBB26_9
.LBB26_13:                              ;   Parent Loop BB26_7 Depth=1
                                        ;     Parent Loop BB26_10 Depth=2
                                        ; =>    This Inner Loop Header: Depth=3
	v_lshl_add_u32 v7, v10, 3, 0
	ds_read_b64 v[12:13], v7
	s_andn2_b64 s[36:37], s[36:37], exec
	s_andn2_b64 s[34:35], s[34:35], exec
	s_waitcnt lgkmcnt(0)
	v_cmp_ne_u64_e32 vcc, v[12:13], v[8:9]
	s_and_saveexec_b64 s[42:43], vcc
	s_cbranch_execz .LBB26_12
; %bb.14:                               ;   in Loop: Header=BB26_13 Depth=3
	v_cmp_ne_u64_e32 vcc, -1, v[12:13]
                                        ; implicit-def: $sgpr44_sgpr45
                                        ; implicit-def: $sgpr0_sgpr1
	s_and_saveexec_b64 s[46:47], vcc
	s_xor_b64 s[46:47], exec, s[46:47]
; %bb.15:                               ;   in Loop: Header=BB26_13 Depth=3
	v_add_u32_e32 v7, 1, v10
	v_and_b32_e32 v10, 0x7fff, v7
	s_mov_b64 s[0:1], -1
	s_and_b64 s[44:45], s[40:41], exec
                                        ; implicit-def: $vgpr7
; %bb.16:                               ;   in Loop: Header=BB26_13 Depth=3
	s_andn2_saveexec_b64 s[46:47], s[46:47]
	s_cbranch_execz .LBB26_11
; %bb.17:                               ;   in Loop: Header=BB26_13 Depth=3
	v_pk_mov_b32 v[12:13], -1, -1
	ds_cmpst_rtn_b64 v[12:13], v7, v[12:13], v[8:9]
	s_andn2_b64 s[50:51], s[0:1], exec
	s_andn2_b64 s[44:45], s[44:45], exec
	s_waitcnt lgkmcnt(0)
	v_cmp_eq_u64_e64 s[0:1], -1, v[12:13]
	v_cmp_ne_u64_e32 vcc, -1, v[12:13]
	s_or_b64 s[40:41], s[0:1], s[40:41]
	s_and_b64 s[0:1], vcc, exec
	s_and_b64 s[40:41], s[40:41], exec
	s_or_b64 s[0:1], s[50:51], s[0:1]
	s_or_b64 s[44:45], s[44:45], s[40:41]
	s_branch .LBB26_11
.LBB26_18:
	s_or_b64 exec, exec, s[24:25]
.LBB26_19:
	s_or_b64 exec, exec, s[20:21]
.LBB26_20:
	s_load_dword s0, s[4:5], 0x54
	s_waitcnt lgkmcnt(0)
	s_bfe_u32 s0, s0, 0x10008
	s_cmp_eq_u32 s0, 0
	s_cbranch_scc1 .LBB26_34
; %bb.21:
	s_lshl_b64 s[0:1], s[6:7], 2
	s_add_u32 s0, s12, s0
	s_addc_u32 s1, s13, s1
	s_load_dwordx2 s[0:1], s[0:1], 0x0
	v_subrev_u32_e32 v4, s18, v1
	s_waitcnt lgkmcnt(0)
	s_sub_i32 s19, s1, s18
	v_add_u32_e32 v4, s0, v4
	v_cmp_gt_i32_e32 vcc, s19, v4
	s_and_saveexec_b64 s[4:5], vcc
	s_cbranch_execz .LBB26_33
; %bb.22:
	s_mov_b32 s0, 0
	s_mov_b64 s[8:9], 0
	v_mov_b32_e32 v9, s15
	v_mov_b32_e32 v12, s0
	s_movk_i32 s15, 0x4f
	s_branch .LBB26_24
.LBB26_23:                              ;   in Loop: Header=BB26_24 Depth=1
	s_or_b64 exec, exec, s[20:21]
	v_add_u32_e32 v4, 32, v4
	v_cndmask_b32_e64 v5, 0, 1, s[10:11]
	v_cmp_le_i32_e32 vcc, s19, v4
	s_or_b64 s[8:9], vcc, s[8:9]
	v_add_co_u32_e32 v2, vcc, v2, v5
	v_addc_co_u32_e32 v3, vcc, 0, v3, vcc
	s_andn2_b64 exec, exec, s[8:9]
	s_cbranch_execz .LBB26_32
.LBB26_24:                              ; =>This Loop Header: Depth=1
                                        ;     Child Loop BB26_27 Depth 2
	v_ashrrev_i32_e32 v5, 31, v4
	v_lshlrev_b64 v[6:7], 3, v[4:5]
	v_add_co_u32_e32 v6, vcc, s14, v6
	v_addc_co_u32_e32 v7, vcc, v9, v7, vcc
	global_load_dwordx2 v[6:7], v[6:7], off
	s_mov_b64 s[20:21], 0
                                        ; implicit-def: $sgpr10_sgpr11
                                        ; implicit-def: $sgpr12_sgpr13
                                        ; implicit-def: $sgpr16_sgpr17
                                        ; implicit-def: $sgpr22_sgpr23
	s_waitcnt vmcnt(0)
	v_subrev_co_u32_e32 v6, vcc, s18, v6
	v_mul_lo_u32 v5, v6, s15
	v_subb_co_u32_e32 v7, vcc, v7, v12, vcc
	v_and_b32_e32 v8, 0x7fff, v5
	s_branch .LBB26_27
.LBB26_25:                              ;   in Loop: Header=BB26_27 Depth=2
	s_or_b64 exec, exec, s[28:29]
	s_andn2_b64 s[16:17], s[16:17], exec
	s_and_b64 s[22:23], s[26:27], exec
	s_andn2_b64 s[12:13], s[12:13], exec
	s_and_b64 s[0:1], s[0:1], exec
	s_or_b64 s[16:17], s[16:17], s[22:23]
	s_or_b64 s[12:13], s[12:13], s[0:1]
                                        ; implicit-def: $sgpr22_sgpr23
.LBB26_26:                              ;   in Loop: Header=BB26_27 Depth=2
	s_or_b64 exec, exec, s[24:25]
	s_xor_b64 s[0:1], s[12:13], -1
	s_and_b64 s[0:1], exec, s[0:1]
	s_or_b64 s[20:21], s[0:1], s[20:21]
	s_andn2_b64 s[0:1], s[22:23], exec
	s_and_b64 s[24:25], s[16:17], exec
	s_or_b64 s[22:23], s[0:1], s[24:25]
	s_andn2_b64 s[0:1], s[10:11], exec
	s_or_b64 s[10:11], s[0:1], s[24:25]
	s_andn2_b64 exec, exec, s[20:21]
	s_cbranch_execz .LBB26_23
.LBB26_27:                              ;   Parent Loop BB26_24 Depth=1
                                        ; =>  This Inner Loop Header: Depth=2
	v_lshl_add_u32 v5, v8, 3, 0
	ds_read_b64 v[10:11], v5
	s_andn2_b64 s[16:17], s[16:17], exec
	s_andn2_b64 s[12:13], s[12:13], exec
	s_waitcnt lgkmcnt(0)
	v_cmp_ne_u64_e32 vcc, v[10:11], v[6:7]
	s_and_saveexec_b64 s[24:25], vcc
	s_cbranch_execz .LBB26_26
; %bb.28:                               ;   in Loop: Header=BB26_27 Depth=2
	v_cmp_ne_u64_e32 vcc, -1, v[10:11]
                                        ; implicit-def: $sgpr26_sgpr27
                                        ; implicit-def: $sgpr0_sgpr1
	s_and_saveexec_b64 s[28:29], vcc
	s_xor_b64 s[28:29], exec, s[28:29]
; %bb.29:                               ;   in Loop: Header=BB26_27 Depth=2
	v_add_u32_e32 v5, 1, v8
	v_and_b32_e32 v8, 0x7fff, v5
	s_mov_b64 s[0:1], -1
	s_and_b64 s[26:27], s[22:23], exec
                                        ; implicit-def: $vgpr5
; %bb.30:                               ;   in Loop: Header=BB26_27 Depth=2
	s_andn2_saveexec_b64 s[28:29], s[28:29]
	s_cbranch_execz .LBB26_25
; %bb.31:                               ;   in Loop: Header=BB26_27 Depth=2
	v_pk_mov_b32 v[10:11], -1, -1
	ds_cmpst_rtn_b64 v[10:11], v5, v[10:11], v[6:7]
	s_andn2_b64 s[30:31], s[0:1], exec
	s_andn2_b64 s[26:27], s[26:27], exec
	s_waitcnt lgkmcnt(0)
	v_cmp_eq_u64_e64 s[0:1], -1, v[10:11]
	v_cmp_ne_u64_e32 vcc, -1, v[10:11]
	s_or_b64 s[22:23], s[0:1], s[22:23]
	s_and_b64 s[0:1], vcc, exec
	s_and_b64 s[22:23], s[22:23], exec
	s_or_b64 s[0:1], s[30:31], s[0:1]
	s_or_b64 s[26:27], s[26:27], s[22:23]
	s_branch .LBB26_25
.LBB26_32:
	s_or_b64 exec, exec, s[8:9]
.LBB26_33:
	s_or_b64 exec, exec, s[4:5]
.LBB26_34:
	v_mov_b32_dpp v4, v2 row_shr:1 row_mask:0xf bank_mask:0xf
	v_add_co_u32_e32 v2, vcc, v2, v4
	v_mov_b32_dpp v5, v3 row_shr:1 row_mask:0xf bank_mask:0xf
	v_addc_co_u32_e32 v3, vcc, 0, v3, vcc
	v_add_co_u32_e32 v4, vcc, 0, v2
	v_addc_co_u32_e32 v3, vcc, v5, v3, vcc
	v_mov_b32_dpp v2, v2 row_shr:2 row_mask:0xf bank_mask:0xf
	v_add_co_u32_e32 v2, vcc, v4, v2
	v_mov_b32_dpp v5, v3 row_shr:2 row_mask:0xf bank_mask:0xf
	v_addc_co_u32_e32 v3, vcc, 0, v3, vcc
	v_add_co_u32_e32 v4, vcc, 0, v2
	v_addc_co_u32_e32 v3, vcc, v3, v5, vcc
	v_mov_b32_dpp v2, v2 row_shr:4 row_mask:0xf bank_mask:0xe
	s_nop 0
	v_mov_b32_dpp v5, v3 row_shr:4 row_mask:0xf bank_mask:0xe
	v_add_co_u32_e32 v2, vcc, v2, v4
	v_addc_co_u32_e32 v3, vcc, v5, v3, vcc
	s_nop 0
	v_mov_b32_dpp v4, v2 row_shr:8 row_mask:0xf bank_mask:0xc
	v_mov_b32_dpp v5, v3 row_shr:8 row_mask:0xf bank_mask:0xc
	v_add_co_u32_e32 v2, vcc, v4, v2
	v_addc_co_u32_e32 v3, vcc, v5, v3, vcc
	s_nop 0
	v_mov_b32_dpp v4, v2 row_bcast:15 row_mask:0xa bank_mask:0xf
	v_mov_b32_dpp v5, v3 row_bcast:15 row_mask:0xa bank_mask:0xf
	v_cmp_eq_u32_e32 vcc, 31, v14
	s_barrier
	s_and_saveexec_b64 s[0:1], vcc
	s_cbranch_execz .LBB26_36
; %bb.35:
	v_add_co_u32_e32 v2, vcc, v4, v2
	v_lshl_add_u32 v1, v1, 3, 0
	v_addc_co_u32_e32 v3, vcc, v5, v3, vcc
	ds_write_b64 v1, v[2:3]
.LBB26_36:
	s_or_b64 exec, exec, s[0:1]
	v_cmp_gt_u32_e32 vcc, 32, v0
	v_pk_mov_b32 v[2:3], 0, 0
	s_waitcnt lgkmcnt(0)
	s_barrier
	s_and_saveexec_b64 s[0:1], vcc
	s_cbranch_execz .LBB26_38
; %bb.37:
	v_lshl_add_u32 v1, v0, 3, 0
	ds_read_b64 v[2:3], v1
.LBB26_38:
	s_or_b64 exec, exec, s[0:1]
	s_waitcnt lgkmcnt(0)
	v_mov_b32_dpp v1, v2 row_shr:1 row_mask:0xf bank_mask:0xf
	v_add_u32_e32 v1, v2, v1
	v_cmp_eq_u32_e32 vcc, 31, v0
	s_nop 0
	v_mov_b32_dpp v2, v1 row_shr:2 row_mask:0xf bank_mask:0xf
	v_add_u32_e32 v1, v1, v2
	s_nop 1
	v_mov_b32_dpp v2, v1 row_shr:4 row_mask:0xf bank_mask:0xe
	v_add_u32_e32 v1, v1, v2
	;; [unrolled: 3-line block ×3, first 2 shown]
	s_nop 1
	v_mov_b32_dpp v2, v1 row_bcast:15 row_mask:0xa bank_mask:0xf
	s_and_saveexec_b64 s[0:1], vcc
	s_cbranch_execz .LBB26_40
; %bb.39:
	s_lshl_b64 s[0:1], s[6:7], 2
	s_add_u32 s0, s2, s0
	s_addc_u32 s1, s3, s1
	v_mov_b32_e32 v0, 0
	v_add_u32_e32 v1, v2, v1
	global_store_dword v0, v1, s[0:1]
.LBB26_40:
	s_endpgm
	.section	.rodata,"a",@progbits
	.p2align	6, 0x0
	.amdhsa_kernel _ZN9rocsparseL25csrgemm_nnz_block_per_rowILj1024ELj32ELj32768ELj79EilEEvPKT4_S3_PKT3_S3_S6_S3_S6_S3_PS4_21rocsparse_index_base_S8_S8_bb
		.amdhsa_group_segment_fixed_size 0
		.amdhsa_private_segment_fixed_size 0
		.amdhsa_kernarg_size 88
		.amdhsa_user_sgpr_count 6
		.amdhsa_user_sgpr_private_segment_buffer 1
		.amdhsa_user_sgpr_dispatch_ptr 0
		.amdhsa_user_sgpr_queue_ptr 0
		.amdhsa_user_sgpr_kernarg_segment_ptr 1
		.amdhsa_user_sgpr_dispatch_id 0
		.amdhsa_user_sgpr_flat_scratch_init 0
		.amdhsa_user_sgpr_kernarg_preload_length 0
		.amdhsa_user_sgpr_kernarg_preload_offset 0
		.amdhsa_user_sgpr_private_segment_size 0
		.amdhsa_uses_dynamic_stack 0
		.amdhsa_system_sgpr_private_segment_wavefront_offset 0
		.amdhsa_system_sgpr_workgroup_id_x 1
		.amdhsa_system_sgpr_workgroup_id_y 0
		.amdhsa_system_sgpr_workgroup_id_z 0
		.amdhsa_system_sgpr_workgroup_info 0
		.amdhsa_system_vgpr_workitem_id 0
		.amdhsa_next_free_vgpr 18
		.amdhsa_next_free_sgpr 52
		.amdhsa_accum_offset 20
		.amdhsa_reserve_vcc 1
		.amdhsa_reserve_flat_scratch 0
		.amdhsa_float_round_mode_32 0
		.amdhsa_float_round_mode_16_64 0
		.amdhsa_float_denorm_mode_32 3
		.amdhsa_float_denorm_mode_16_64 3
		.amdhsa_dx10_clamp 1
		.amdhsa_ieee_mode 1
		.amdhsa_fp16_overflow 0
		.amdhsa_tg_split 0
		.amdhsa_exception_fp_ieee_invalid_op 0
		.amdhsa_exception_fp_denorm_src 0
		.amdhsa_exception_fp_ieee_div_zero 0
		.amdhsa_exception_fp_ieee_overflow 0
		.amdhsa_exception_fp_ieee_underflow 0
		.amdhsa_exception_fp_ieee_inexact 0
		.amdhsa_exception_int_div_zero 0
	.end_amdhsa_kernel
	.section	.text._ZN9rocsparseL25csrgemm_nnz_block_per_rowILj1024ELj32ELj32768ELj79EilEEvPKT4_S3_PKT3_S3_S6_S3_S6_S3_PS4_21rocsparse_index_base_S8_S8_bb,"axG",@progbits,_ZN9rocsparseL25csrgemm_nnz_block_per_rowILj1024ELj32ELj32768ELj79EilEEvPKT4_S3_PKT3_S3_S6_S3_S6_S3_PS4_21rocsparse_index_base_S8_S8_bb,comdat
.Lfunc_end26:
	.size	_ZN9rocsparseL25csrgemm_nnz_block_per_rowILj1024ELj32ELj32768ELj79EilEEvPKT4_S3_PKT3_S3_S6_S3_S6_S3_PS4_21rocsparse_index_base_S8_S8_bb, .Lfunc_end26-_ZN9rocsparseL25csrgemm_nnz_block_per_rowILj1024ELj32ELj32768ELj79EilEEvPKT4_S3_PKT3_S3_S6_S3_S6_S3_PS4_21rocsparse_index_base_S8_S8_bb
                                        ; -- End function
	.section	.AMDGPU.csdata,"",@progbits
; Kernel info:
; codeLenInByte = 1544
; NumSgprs: 56
; NumVgprs: 18
; NumAgprs: 0
; TotalNumVgprs: 18
; ScratchSize: 0
; MemoryBound: 0
; FloatMode: 240
; IeeeMode: 1
; LDSByteSize: 0 bytes/workgroup (compile time only)
; SGPRBlocks: 6
; VGPRBlocks: 2
; NumSGPRsForWavesPerEU: 56
; NumVGPRsForWavesPerEU: 18
; AccumOffset: 20
; Occupancy: 8
; WaveLimiterHint : 1
; COMPUTE_PGM_RSRC2:SCRATCH_EN: 0
; COMPUTE_PGM_RSRC2:USER_SGPR: 6
; COMPUTE_PGM_RSRC2:TRAP_HANDLER: 0
; COMPUTE_PGM_RSRC2:TGID_X_EN: 1
; COMPUTE_PGM_RSRC2:TGID_Y_EN: 0
; COMPUTE_PGM_RSRC2:TGID_Z_EN: 0
; COMPUTE_PGM_RSRC2:TIDIG_COMP_CNT: 0
; COMPUTE_PGM_RSRC3_GFX90A:ACCUM_OFFSET: 4
; COMPUTE_PGM_RSRC3_GFX90A:TG_SPLIT: 0
	.section	.text._ZN9rocsparseL25csrgemm_nnz_block_per_rowILj1024ELj32ELj65536ELj79EilEEvPKT4_S3_PKT3_S3_S6_S3_S6_S3_PS4_21rocsparse_index_base_S8_S8_bb,"axG",@progbits,_ZN9rocsparseL25csrgemm_nnz_block_per_rowILj1024ELj32ELj65536ELj79EilEEvPKT4_S3_PKT3_S3_S6_S3_S6_S3_PS4_21rocsparse_index_base_S8_S8_bb,comdat
	.globl	_ZN9rocsparseL25csrgemm_nnz_block_per_rowILj1024ELj32ELj65536ELj79EilEEvPKT4_S3_PKT3_S3_S6_S3_S6_S3_PS4_21rocsparse_index_base_S8_S8_bb ; -- Begin function _ZN9rocsparseL25csrgemm_nnz_block_per_rowILj1024ELj32ELj65536ELj79EilEEvPKT4_S3_PKT3_S3_S6_S3_S6_S3_PS4_21rocsparse_index_base_S8_S8_bb
	.p2align	8
	.type	_ZN9rocsparseL25csrgemm_nnz_block_per_rowILj1024ELj32ELj65536ELj79EilEEvPKT4_S3_PKT3_S3_S6_S3_S6_S3_PS4_21rocsparse_index_base_S8_S8_bb,@function
_ZN9rocsparseL25csrgemm_nnz_block_per_rowILj1024ELj32ELj65536ELj79EilEEvPKT4_S3_PKT3_S3_S6_S3_S6_S3_PS4_21rocsparse_index_base_S8_S8_bb: ; @_ZN9rocsparseL25csrgemm_nnz_block_per_rowILj1024ELj32ELj65536ELj79EilEEvPKT4_S3_PKT3_S3_S6_S3_S6_S3_PS4_21rocsparse_index_base_S8_S8_bb
; %bb.0:
	s_load_dwordx8 s[16:23], s[4:5], 0x0
	s_mov_b32 s7, 0
	v_mov_b32_e32 v2, -1
	v_or_b32_e32 v1, 0xfffffc00, v0
	v_lshl_add_u32 v4, v0, 3, 0
	s_waitcnt lgkmcnt(0)
	s_load_dwordx2 s[0:1], s[16:17], 0x0
	s_load_dwordx2 s[2:3], s[4:5], 0x40
	s_load_dwordx8 s[8:15], s[4:5], 0x20
	v_mov_b32_e32 v3, v2
	s_waitcnt lgkmcnt(0)
	s_lshl_b64 s[0:1], s[0:1], 3
	s_add_u32 s16, s18, s0
	s_addc_u32 s17, s19, s1
	s_lshl_b64 s[0:1], s[6:7], 3
	s_add_u32 s0, s16, s0
	s_addc_u32 s1, s17, s1
	s_load_dwordx2 s[6:7], s[0:1], 0x0
	s_mov_b64 s[0:1], 0
	s_mov_b32 s16, 0xfbff
.LBB27_1:                               ; =>This Inner Loop Header: Depth=1
	v_add_u32_e32 v1, 0x400, v1
	v_cmp_lt_u32_e32 vcc, s16, v1
	ds_write_b64 v4, v[2:3]
	s_or_b64 s[0:1], vcc, s[0:1]
	v_add_u32_e32 v4, 0x2000, v4
	s_andn2_b64 exec, exec, s[0:1]
	s_cbranch_execnz .LBB27_1
; %bb.2:
	s_or_b64 exec, exec, s[0:1]
	s_load_dwordx4 s[16:19], s[4:5], 0x48
	v_and_b32_e32 v14, 31, v0
	v_lshrrev_b32_e32 v1, 5, v0
	v_pk_mov_b32 v[2:3], 0, 0
	s_waitcnt lgkmcnt(0)
	s_bitcmp1_b32 s19, 0
	s_cselect_b64 s[0:1], -1, 0
	s_and_b64 vcc, exec, s[0:1]
	s_barrier
	s_cbranch_vccz .LBB27_20
; %bb.3:
	s_lshl_b64 s[0:1], s[6:7], 2
	s_add_u32 s0, s20, s0
	s_addc_u32 s1, s21, s1
	s_load_dwordx2 s[0:1], s[0:1], 0x0
	v_subrev_u32_e32 v2, s16, v1
	s_waitcnt lgkmcnt(0)
	s_sub_i32 s19, s1, s16
	v_add_u32_e32 v4, s0, v2
	v_cmp_gt_i32_e32 vcc, s19, v4
	v_pk_mov_b32 v[2:3], 0, 0
	s_and_saveexec_b64 s[20:21], vcc
	s_cbranch_execz .LBB27_19
; %bb.4:
	s_mov_b32 s0, 0
	v_subrev_u32_e32 v11, s17, v14
	s_mov_b32 s33, s17
	s_mov_b32 s48, s0
	s_mov_b64 s[24:25], 0
	v_pk_mov_b32 v[2:3], 0, 0
	v_mov_b32_e32 v15, s23
	v_mov_b32_e32 v16, s0
	;; [unrolled: 1-line block ×3, first 2 shown]
	s_movk_i32 s9, 0x4f
	s_branch .LBB27_7
.LBB27_5:                               ;   in Loop: Header=BB27_7 Depth=1
	s_or_b64 exec, exec, s[28:29]
.LBB27_6:                               ;   in Loop: Header=BB27_7 Depth=1
	s_or_b64 exec, exec, s[26:27]
	v_add_u32_e32 v4, 32, v4
	v_cmp_le_i32_e32 vcc, s19, v4
	s_or_b64 s[24:25], vcc, s[24:25]
	s_andn2_b64 exec, exec, s[24:25]
	s_cbranch_execz .LBB27_18
.LBB27_7:                               ; =>This Loop Header: Depth=1
                                        ;     Child Loop BB27_10 Depth 2
                                        ;       Child Loop BB27_13 Depth 3
	v_ashrrev_i32_e32 v5, 31, v4
	v_lshlrev_b64 v[6:7], 3, v[4:5]
	v_add_co_u32_e32 v6, vcc, s22, v6
	v_addc_co_u32_e32 v7, vcc, v15, v7, vcc
	global_load_dwordx2 v[6:7], v[6:7], off
	s_waitcnt vmcnt(0)
	v_subrev_co_u32_e32 v6, vcc, s16, v6
	v_subb_co_u32_e32 v7, vcc, v7, v16, vcc
	v_lshlrev_b64 v[6:7], 2, v[6:7]
	v_add_co_u32_e32 v6, vcc, s8, v6
	v_addc_co_u32_e32 v7, vcc, v17, v7, vcc
	global_load_dwordx2 v[6:7], v[6:7], off
	s_waitcnt vmcnt(0)
	v_subrev_u32_e32 v5, s17, v7
	v_add_u32_e32 v6, v11, v6
	v_cmp_lt_i32_e32 vcc, v6, v5
	s_and_saveexec_b64 s[26:27], vcc
	s_cbranch_execz .LBB27_6
; %bb.8:                                ;   in Loop: Header=BB27_7 Depth=1
	s_mov_b64 s[28:29], 0
	s_branch .LBB27_10
.LBB27_9:                               ;   in Loop: Header=BB27_10 Depth=2
	s_or_b64 exec, exec, s[38:39]
	v_add_u32_e32 v6, 32, v6
	v_cndmask_b32_e64 v7, 0, 1, s[30:31]
	v_cmp_ge_i32_e32 vcc, v6, v5
	s_or_b64 s[28:29], vcc, s[28:29]
	v_add_co_u32_e32 v2, vcc, v2, v7
	v_addc_co_u32_e32 v3, vcc, 0, v3, vcc
	s_andn2_b64 exec, exec, s[28:29]
	s_cbranch_execz .LBB27_5
.LBB27_10:                              ;   Parent Loop BB27_7 Depth=1
                                        ; =>  This Loop Header: Depth=2
                                        ;       Child Loop BB27_13 Depth 3
	v_ashrrev_i32_e32 v7, 31, v6
	v_lshlrev_b64 v[8:9], 3, v[6:7]
	v_mov_b32_e32 v7, s11
	v_add_co_u32_e32 v8, vcc, s10, v8
	v_addc_co_u32_e32 v9, vcc, v7, v9, vcc
	global_load_dwordx2 v[8:9], v[8:9], off
	v_mov_b32_e32 v7, s48
	s_mov_b64 s[38:39], 0
                                        ; implicit-def: $sgpr30_sgpr31
                                        ; implicit-def: $sgpr34_sgpr35
                                        ; implicit-def: $sgpr36_sgpr37
                                        ; implicit-def: $sgpr40_sgpr41
	s_waitcnt vmcnt(0)
	v_subrev_co_u32_e32 v8, vcc, s33, v8
	v_subb_co_u32_e32 v9, vcc, v9, v7, vcc
	v_mul_lo_u32 v7, v8, s9
	v_and_b32_e32 v10, 0xffff, v7
	s_branch .LBB27_13
.LBB27_11:                              ;   in Loop: Header=BB27_13 Depth=3
	s_or_b64 exec, exec, s[46:47]
	s_andn2_b64 s[36:37], s[36:37], exec
	s_and_b64 s[40:41], s[44:45], exec
	s_andn2_b64 s[34:35], s[34:35], exec
	s_and_b64 s[0:1], s[0:1], exec
	s_or_b64 s[36:37], s[36:37], s[40:41]
	s_or_b64 s[34:35], s[34:35], s[0:1]
                                        ; implicit-def: $sgpr40_sgpr41
.LBB27_12:                              ;   in Loop: Header=BB27_13 Depth=3
	s_or_b64 exec, exec, s[42:43]
	s_xor_b64 s[0:1], s[34:35], -1
	s_and_b64 s[0:1], exec, s[0:1]
	s_or_b64 s[38:39], s[0:1], s[38:39]
	s_andn2_b64 s[0:1], s[40:41], exec
	s_and_b64 s[42:43], s[36:37], exec
	s_or_b64 s[40:41], s[0:1], s[42:43]
	s_andn2_b64 s[0:1], s[30:31], exec
	s_or_b64 s[30:31], s[0:1], s[42:43]
	s_andn2_b64 exec, exec, s[38:39]
	s_cbranch_execz .LBB27_9
.LBB27_13:                              ;   Parent Loop BB27_7 Depth=1
                                        ;     Parent Loop BB27_10 Depth=2
                                        ; =>    This Inner Loop Header: Depth=3
	v_lshl_add_u32 v7, v10, 3, 0
	ds_read_b64 v[12:13], v7
	s_andn2_b64 s[36:37], s[36:37], exec
	s_andn2_b64 s[34:35], s[34:35], exec
	s_waitcnt lgkmcnt(0)
	v_cmp_ne_u64_e32 vcc, v[12:13], v[8:9]
	s_and_saveexec_b64 s[42:43], vcc
	s_cbranch_execz .LBB27_12
; %bb.14:                               ;   in Loop: Header=BB27_13 Depth=3
	v_cmp_ne_u64_e32 vcc, -1, v[12:13]
                                        ; implicit-def: $sgpr44_sgpr45
                                        ; implicit-def: $sgpr0_sgpr1
	s_and_saveexec_b64 s[46:47], vcc
	s_xor_b64 s[46:47], exec, s[46:47]
; %bb.15:                               ;   in Loop: Header=BB27_13 Depth=3
	v_add_u32_e32 v7, 1, v10
	v_and_b32_e32 v10, 0xffff, v7
	s_mov_b64 s[0:1], -1
	s_and_b64 s[44:45], s[40:41], exec
                                        ; implicit-def: $vgpr7
; %bb.16:                               ;   in Loop: Header=BB27_13 Depth=3
	s_andn2_saveexec_b64 s[46:47], s[46:47]
	s_cbranch_execz .LBB27_11
; %bb.17:                               ;   in Loop: Header=BB27_13 Depth=3
	v_pk_mov_b32 v[12:13], -1, -1
	ds_cmpst_rtn_b64 v[12:13], v7, v[12:13], v[8:9]
	s_andn2_b64 s[50:51], s[0:1], exec
	s_andn2_b64 s[44:45], s[44:45], exec
	s_waitcnt lgkmcnt(0)
	v_cmp_eq_u64_e64 s[0:1], -1, v[12:13]
	v_cmp_ne_u64_e32 vcc, -1, v[12:13]
	s_or_b64 s[40:41], s[0:1], s[40:41]
	s_and_b64 s[0:1], vcc, exec
	s_and_b64 s[40:41], s[40:41], exec
	s_or_b64 s[0:1], s[50:51], s[0:1]
	s_or_b64 s[44:45], s[44:45], s[40:41]
	s_branch .LBB27_11
.LBB27_18:
	s_or_b64 exec, exec, s[24:25]
.LBB27_19:
	s_or_b64 exec, exec, s[20:21]
.LBB27_20:
	s_load_dword s0, s[4:5], 0x54
	s_waitcnt lgkmcnt(0)
	s_bfe_u32 s0, s0, 0x10008
	s_cmp_eq_u32 s0, 0
	s_cbranch_scc1 .LBB27_34
; %bb.21:
	s_lshl_b64 s[0:1], s[6:7], 2
	s_add_u32 s0, s12, s0
	s_addc_u32 s1, s13, s1
	s_load_dwordx2 s[0:1], s[0:1], 0x0
	v_subrev_u32_e32 v4, s18, v1
	s_waitcnt lgkmcnt(0)
	s_sub_i32 s19, s1, s18
	v_add_u32_e32 v4, s0, v4
	v_cmp_gt_i32_e32 vcc, s19, v4
	s_and_saveexec_b64 s[4:5], vcc
	s_cbranch_execz .LBB27_33
; %bb.22:
	s_mov_b32 s0, 0
	s_mov_b64 s[8:9], 0
	v_mov_b32_e32 v9, s15
	v_mov_b32_e32 v12, s0
	s_movk_i32 s15, 0x4f
	s_branch .LBB27_24
.LBB27_23:                              ;   in Loop: Header=BB27_24 Depth=1
	s_or_b64 exec, exec, s[20:21]
	v_add_u32_e32 v4, 32, v4
	v_cndmask_b32_e64 v5, 0, 1, s[10:11]
	v_cmp_le_i32_e32 vcc, s19, v4
	s_or_b64 s[8:9], vcc, s[8:9]
	v_add_co_u32_e32 v2, vcc, v2, v5
	v_addc_co_u32_e32 v3, vcc, 0, v3, vcc
	s_andn2_b64 exec, exec, s[8:9]
	s_cbranch_execz .LBB27_32
.LBB27_24:                              ; =>This Loop Header: Depth=1
                                        ;     Child Loop BB27_27 Depth 2
	v_ashrrev_i32_e32 v5, 31, v4
	v_lshlrev_b64 v[6:7], 3, v[4:5]
	v_add_co_u32_e32 v6, vcc, s14, v6
	v_addc_co_u32_e32 v7, vcc, v9, v7, vcc
	global_load_dwordx2 v[6:7], v[6:7], off
	s_mov_b64 s[20:21], 0
                                        ; implicit-def: $sgpr10_sgpr11
                                        ; implicit-def: $sgpr12_sgpr13
                                        ; implicit-def: $sgpr16_sgpr17
                                        ; implicit-def: $sgpr22_sgpr23
	s_waitcnt vmcnt(0)
	v_subrev_co_u32_e32 v6, vcc, s18, v6
	v_mul_lo_u32 v5, v6, s15
	v_subb_co_u32_e32 v7, vcc, v7, v12, vcc
	v_and_b32_e32 v8, 0xffff, v5
	s_branch .LBB27_27
.LBB27_25:                              ;   in Loop: Header=BB27_27 Depth=2
	s_or_b64 exec, exec, s[28:29]
	s_andn2_b64 s[16:17], s[16:17], exec
	s_and_b64 s[22:23], s[26:27], exec
	s_andn2_b64 s[12:13], s[12:13], exec
	s_and_b64 s[0:1], s[0:1], exec
	s_or_b64 s[16:17], s[16:17], s[22:23]
	s_or_b64 s[12:13], s[12:13], s[0:1]
                                        ; implicit-def: $sgpr22_sgpr23
.LBB27_26:                              ;   in Loop: Header=BB27_27 Depth=2
	s_or_b64 exec, exec, s[24:25]
	s_xor_b64 s[0:1], s[12:13], -1
	s_and_b64 s[0:1], exec, s[0:1]
	s_or_b64 s[20:21], s[0:1], s[20:21]
	s_andn2_b64 s[0:1], s[22:23], exec
	s_and_b64 s[24:25], s[16:17], exec
	s_or_b64 s[22:23], s[0:1], s[24:25]
	s_andn2_b64 s[0:1], s[10:11], exec
	s_or_b64 s[10:11], s[0:1], s[24:25]
	s_andn2_b64 exec, exec, s[20:21]
	s_cbranch_execz .LBB27_23
.LBB27_27:                              ;   Parent Loop BB27_24 Depth=1
                                        ; =>  This Inner Loop Header: Depth=2
	v_lshl_add_u32 v5, v8, 3, 0
	ds_read_b64 v[10:11], v5
	s_andn2_b64 s[16:17], s[16:17], exec
	s_andn2_b64 s[12:13], s[12:13], exec
	s_waitcnt lgkmcnt(0)
	v_cmp_ne_u64_e32 vcc, v[10:11], v[6:7]
	s_and_saveexec_b64 s[24:25], vcc
	s_cbranch_execz .LBB27_26
; %bb.28:                               ;   in Loop: Header=BB27_27 Depth=2
	v_cmp_ne_u64_e32 vcc, -1, v[10:11]
                                        ; implicit-def: $sgpr26_sgpr27
                                        ; implicit-def: $sgpr0_sgpr1
	s_and_saveexec_b64 s[28:29], vcc
	s_xor_b64 s[28:29], exec, s[28:29]
; %bb.29:                               ;   in Loop: Header=BB27_27 Depth=2
	v_add_u32_e32 v5, 1, v8
	v_and_b32_e32 v8, 0xffff, v5
	s_mov_b64 s[0:1], -1
	s_and_b64 s[26:27], s[22:23], exec
                                        ; implicit-def: $vgpr5
; %bb.30:                               ;   in Loop: Header=BB27_27 Depth=2
	s_andn2_saveexec_b64 s[28:29], s[28:29]
	s_cbranch_execz .LBB27_25
; %bb.31:                               ;   in Loop: Header=BB27_27 Depth=2
	v_pk_mov_b32 v[10:11], -1, -1
	ds_cmpst_rtn_b64 v[10:11], v5, v[10:11], v[6:7]
	s_andn2_b64 s[30:31], s[0:1], exec
	s_andn2_b64 s[26:27], s[26:27], exec
	s_waitcnt lgkmcnt(0)
	v_cmp_eq_u64_e64 s[0:1], -1, v[10:11]
	v_cmp_ne_u64_e32 vcc, -1, v[10:11]
	s_or_b64 s[22:23], s[0:1], s[22:23]
	s_and_b64 s[0:1], vcc, exec
	s_and_b64 s[22:23], s[22:23], exec
	s_or_b64 s[0:1], s[30:31], s[0:1]
	s_or_b64 s[26:27], s[26:27], s[22:23]
	s_branch .LBB27_25
.LBB27_32:
	s_or_b64 exec, exec, s[8:9]
.LBB27_33:
	s_or_b64 exec, exec, s[4:5]
.LBB27_34:
	v_mov_b32_dpp v4, v2 row_shr:1 row_mask:0xf bank_mask:0xf
	v_add_co_u32_e32 v2, vcc, v2, v4
	v_mov_b32_dpp v5, v3 row_shr:1 row_mask:0xf bank_mask:0xf
	v_addc_co_u32_e32 v3, vcc, 0, v3, vcc
	v_add_co_u32_e32 v4, vcc, 0, v2
	v_addc_co_u32_e32 v3, vcc, v5, v3, vcc
	v_mov_b32_dpp v2, v2 row_shr:2 row_mask:0xf bank_mask:0xf
	v_add_co_u32_e32 v2, vcc, v4, v2
	v_mov_b32_dpp v5, v3 row_shr:2 row_mask:0xf bank_mask:0xf
	v_addc_co_u32_e32 v3, vcc, 0, v3, vcc
	v_add_co_u32_e32 v4, vcc, 0, v2
	v_addc_co_u32_e32 v3, vcc, v3, v5, vcc
	v_mov_b32_dpp v2, v2 row_shr:4 row_mask:0xf bank_mask:0xe
	s_nop 0
	v_mov_b32_dpp v5, v3 row_shr:4 row_mask:0xf bank_mask:0xe
	v_add_co_u32_e32 v2, vcc, v2, v4
	v_addc_co_u32_e32 v3, vcc, v5, v3, vcc
	s_nop 0
	v_mov_b32_dpp v4, v2 row_shr:8 row_mask:0xf bank_mask:0xc
	v_mov_b32_dpp v5, v3 row_shr:8 row_mask:0xf bank_mask:0xc
	v_add_co_u32_e32 v2, vcc, v4, v2
	v_addc_co_u32_e32 v3, vcc, v5, v3, vcc
	s_nop 0
	v_mov_b32_dpp v4, v2 row_bcast:15 row_mask:0xa bank_mask:0xf
	v_mov_b32_dpp v5, v3 row_bcast:15 row_mask:0xa bank_mask:0xf
	v_cmp_eq_u32_e32 vcc, 31, v14
	s_barrier
	s_and_saveexec_b64 s[0:1], vcc
	s_cbranch_execz .LBB27_36
; %bb.35:
	v_add_co_u32_e32 v2, vcc, v4, v2
	v_lshl_add_u32 v1, v1, 3, 0
	v_addc_co_u32_e32 v3, vcc, v5, v3, vcc
	ds_write_b64 v1, v[2:3]
.LBB27_36:
	s_or_b64 exec, exec, s[0:1]
	v_cmp_gt_u32_e32 vcc, 32, v0
	v_pk_mov_b32 v[2:3], 0, 0
	s_waitcnt lgkmcnt(0)
	s_barrier
	s_and_saveexec_b64 s[0:1], vcc
	s_cbranch_execz .LBB27_38
; %bb.37:
	v_lshl_add_u32 v1, v0, 3, 0
	ds_read_b64 v[2:3], v1
.LBB27_38:
	s_or_b64 exec, exec, s[0:1]
	s_waitcnt lgkmcnt(0)
	v_mov_b32_dpp v1, v2 row_shr:1 row_mask:0xf bank_mask:0xf
	v_add_u32_e32 v1, v2, v1
	v_cmp_eq_u32_e32 vcc, 31, v0
	s_nop 0
	v_mov_b32_dpp v2, v1 row_shr:2 row_mask:0xf bank_mask:0xf
	v_add_u32_e32 v1, v1, v2
	s_nop 1
	v_mov_b32_dpp v2, v1 row_shr:4 row_mask:0xf bank_mask:0xe
	v_add_u32_e32 v1, v1, v2
	;; [unrolled: 3-line block ×3, first 2 shown]
	s_nop 1
	v_mov_b32_dpp v2, v1 row_bcast:15 row_mask:0xa bank_mask:0xf
	s_and_saveexec_b64 s[0:1], vcc
	s_cbranch_execz .LBB27_40
; %bb.39:
	s_lshl_b64 s[0:1], s[6:7], 2
	s_add_u32 s0, s2, s0
	s_addc_u32 s1, s3, s1
	v_mov_b32_e32 v0, 0
	v_add_u32_e32 v1, v2, v1
	global_store_dword v0, v1, s[0:1]
.LBB27_40:
	s_endpgm
	.section	.rodata,"a",@progbits
	.p2align	6, 0x0
	.amdhsa_kernel _ZN9rocsparseL25csrgemm_nnz_block_per_rowILj1024ELj32ELj65536ELj79EilEEvPKT4_S3_PKT3_S3_S6_S3_S6_S3_PS4_21rocsparse_index_base_S8_S8_bb
		.amdhsa_group_segment_fixed_size 0
		.amdhsa_private_segment_fixed_size 0
		.amdhsa_kernarg_size 88
		.amdhsa_user_sgpr_count 6
		.amdhsa_user_sgpr_private_segment_buffer 1
		.amdhsa_user_sgpr_dispatch_ptr 0
		.amdhsa_user_sgpr_queue_ptr 0
		.amdhsa_user_sgpr_kernarg_segment_ptr 1
		.amdhsa_user_sgpr_dispatch_id 0
		.amdhsa_user_sgpr_flat_scratch_init 0
		.amdhsa_user_sgpr_kernarg_preload_length 0
		.amdhsa_user_sgpr_kernarg_preload_offset 0
		.amdhsa_user_sgpr_private_segment_size 0
		.amdhsa_uses_dynamic_stack 0
		.amdhsa_system_sgpr_private_segment_wavefront_offset 0
		.amdhsa_system_sgpr_workgroup_id_x 1
		.amdhsa_system_sgpr_workgroup_id_y 0
		.amdhsa_system_sgpr_workgroup_id_z 0
		.amdhsa_system_sgpr_workgroup_info 0
		.amdhsa_system_vgpr_workitem_id 0
		.amdhsa_next_free_vgpr 18
		.amdhsa_next_free_sgpr 52
		.amdhsa_accum_offset 20
		.amdhsa_reserve_vcc 1
		.amdhsa_reserve_flat_scratch 0
		.amdhsa_float_round_mode_32 0
		.amdhsa_float_round_mode_16_64 0
		.amdhsa_float_denorm_mode_32 3
		.amdhsa_float_denorm_mode_16_64 3
		.amdhsa_dx10_clamp 1
		.amdhsa_ieee_mode 1
		.amdhsa_fp16_overflow 0
		.amdhsa_tg_split 0
		.amdhsa_exception_fp_ieee_invalid_op 0
		.amdhsa_exception_fp_denorm_src 0
		.amdhsa_exception_fp_ieee_div_zero 0
		.amdhsa_exception_fp_ieee_overflow 0
		.amdhsa_exception_fp_ieee_underflow 0
		.amdhsa_exception_fp_ieee_inexact 0
		.amdhsa_exception_int_div_zero 0
	.end_amdhsa_kernel
	.section	.text._ZN9rocsparseL25csrgemm_nnz_block_per_rowILj1024ELj32ELj65536ELj79EilEEvPKT4_S3_PKT3_S3_S6_S3_S6_S3_PS4_21rocsparse_index_base_S8_S8_bb,"axG",@progbits,_ZN9rocsparseL25csrgemm_nnz_block_per_rowILj1024ELj32ELj65536ELj79EilEEvPKT4_S3_PKT3_S3_S6_S3_S6_S3_PS4_21rocsparse_index_base_S8_S8_bb,comdat
.Lfunc_end27:
	.size	_ZN9rocsparseL25csrgemm_nnz_block_per_rowILj1024ELj32ELj65536ELj79EilEEvPKT4_S3_PKT3_S3_S6_S3_S6_S3_PS4_21rocsparse_index_base_S8_S8_bb, .Lfunc_end27-_ZN9rocsparseL25csrgemm_nnz_block_per_rowILj1024ELj32ELj65536ELj79EilEEvPKT4_S3_PKT3_S3_S6_S3_S6_S3_PS4_21rocsparse_index_base_S8_S8_bb
                                        ; -- End function
	.section	.AMDGPU.csdata,"",@progbits
; Kernel info:
; codeLenInByte = 1548
; NumSgprs: 56
; NumVgprs: 18
; NumAgprs: 0
; TotalNumVgprs: 18
; ScratchSize: 0
; MemoryBound: 0
; FloatMode: 240
; IeeeMode: 1
; LDSByteSize: 0 bytes/workgroup (compile time only)
; SGPRBlocks: 6
; VGPRBlocks: 2
; NumSGPRsForWavesPerEU: 56
; NumVGPRsForWavesPerEU: 18
; AccumOffset: 20
; Occupancy: 8
; WaveLimiterHint : 1
; COMPUTE_PGM_RSRC2:SCRATCH_EN: 0
; COMPUTE_PGM_RSRC2:USER_SGPR: 6
; COMPUTE_PGM_RSRC2:TRAP_HANDLER: 0
; COMPUTE_PGM_RSRC2:TGID_X_EN: 1
; COMPUTE_PGM_RSRC2:TGID_Y_EN: 0
; COMPUTE_PGM_RSRC2:TGID_Z_EN: 0
; COMPUTE_PGM_RSRC2:TIDIG_COMP_CNT: 0
; COMPUTE_PGM_RSRC3_GFX90A:ACCUM_OFFSET: 4
; COMPUTE_PGM_RSRC3_GFX90A:TG_SPLIT: 0
	.section	.text._ZN9rocsparseL35csrgemm_nnz_block_per_row_multipassILj512ELj16ELj2048EilEEvT3_PKS1_S3_PKT2_S3_S6_S3_S6_S3_PS4_S7_21rocsparse_index_base_S8_S8_bb,"axG",@progbits,_ZN9rocsparseL35csrgemm_nnz_block_per_row_multipassILj512ELj16ELj2048EilEEvT3_PKS1_S3_PKT2_S3_S6_S3_S6_S3_PS4_S7_21rocsparse_index_base_S8_S8_bb,comdat
	.globl	_ZN9rocsparseL35csrgemm_nnz_block_per_row_multipassILj512ELj16ELj2048EilEEvT3_PKS1_S3_PKT2_S3_S6_S3_S6_S3_PS4_S7_21rocsparse_index_base_S8_S8_bb ; -- Begin function _ZN9rocsparseL35csrgemm_nnz_block_per_row_multipassILj512ELj16ELj2048EilEEvT3_PKS1_S3_PKT2_S3_S6_S3_S6_S3_PS4_S7_21rocsparse_index_base_S8_S8_bb
	.p2align	8
	.type	_ZN9rocsparseL35csrgemm_nnz_block_per_row_multipassILj512ELj16ELj2048EilEEvT3_PKS1_S3_PKT2_S3_S6_S3_S6_S3_PS4_S7_21rocsparse_index_base_S8_S8_bb,@function
_ZN9rocsparseL35csrgemm_nnz_block_per_row_multipassILj512ELj16ELj2048EilEEvT3_PKS1_S3_PKT2_S3_S6_S3_S6_S3_PS4_S7_21rocsparse_index_base_S8_S8_bb: ; @_ZN9rocsparseL35csrgemm_nnz_block_per_row_multipassILj512ELj16ELj2048EilEEvT3_PKS1_S3_PKT2_S3_S6_S3_S6_S3_PS4_S7_21rocsparse_index_base_S8_S8_bb
; %bb.0:
	s_load_dwordx4 s[8:11], s[4:5], 0x8
	s_load_dwordx2 s[2:3], s[4:5], 0x18
	s_mov_b32 s7, 0
	s_waitcnt lgkmcnt(0)
	s_load_dwordx2 s[0:1], s[8:9], 0x0
	s_waitcnt lgkmcnt(0)
	s_lshl_b64 s[0:1], s[0:1], 3
	s_add_u32 s8, s10, s0
	s_addc_u32 s9, s11, s1
	s_lshl_b64 s[0:1], s[6:7], 3
	s_add_u32 s8, s8, s0
	s_addc_u32 s9, s9, s1
	v_cmp_eq_u32_e64 s[0:1], 0, v0
	s_and_saveexec_b64 s[10:11], s[0:1]
	s_cbranch_execz .LBB28_2
; %bb.1:
	v_mov_b32_e32 v2, 0
	v_mov_b32_e32 v3, v2
	ds_write_b64 v2, v[2:3] offset:2056
.LBB28_2:
	s_or_b64 exec, exec, s[10:11]
	s_load_dwordx4 s[16:19], s[4:5], 0x58
	s_load_dwordx2 s[20:21], s[8:9], 0x0
	s_waitcnt lgkmcnt(0)
	s_bitcmp1_b32 s19, 0
	s_cselect_b64 s[30:31], -1, 0
	s_bitcmp0_b32 s19, 0
	s_cbranch_scc0 .LBB28_5
; %bb.3:
	s_andn2_b64 vcc, exec, s[30:31]
	s_mov_b32 s19, 0
	s_cbranch_vccz .LBB28_6
.LBB28_4:
	s_load_dwordx2 s[22:23], s[4:5], 0x0
	s_waitcnt lgkmcnt(0)
	v_cmp_lt_i64_e64 s[2:3], s[22:23], 1
	s_and_b64 vcc, exec, s[2:3]
	s_cbranch_vccz .LBB28_7
	s_branch .LBB28_68
.LBB28_5:
	s_lshl_b64 s[6:7], s[20:21], 2
	s_add_u32 s6, s2, s6
	s_addc_u32 s7, s3, s7
	s_load_dword s6, s[6:7], 0x0
	s_waitcnt lgkmcnt(0)
	s_sub_i32 s7, s6, s16
	s_andn2_b64 vcc, exec, s[30:31]
	s_mov_b32 s19, 0
	s_cbranch_vccnz .LBB28_4
.LBB28_6:
	s_lshl_b64 s[8:9], s[20:21], 2
	s_add_u32 s2, s2, s8
	s_addc_u32 s3, s3, s9
	s_load_dword s2, s[2:3], 0x4
	s_waitcnt lgkmcnt(0)
	s_sub_i32 s19, s2, s16
	s_load_dwordx2 s[22:23], s[4:5], 0x0
	s_waitcnt lgkmcnt(0)
	v_cmp_lt_i64_e64 s[2:3], s[22:23], 1
	s_and_b64 vcc, exec, s[2:3]
	s_cbranch_vccnz .LBB28_68
.LBB28_7:
	s_load_dword s2, s[4:5], 0x64
	s_load_dwordx8 s[8:15], s[4:5], 0x20
	s_load_dwordx2 s[24:25], s[4:5], 0x50
	s_load_dwordx2 s[26:27], s[4:5], 0x40
	v_lshrrev_b32_e32 v1, 4, v0
	s_waitcnt lgkmcnt(0)
	s_bitcmp1_b32 s2, 8
	s_cselect_b64 s[28:29], -1, 0
	v_add_u32_e32 v15, s7, v1
	s_lshl_b64 s[6:7], s[20:21], 2
	v_cmp_gt_i32_e32 vcc, s19, v15
	s_add_u32 s14, s14, s6
	s_addc_u32 s15, s15, s7
	s_and_b64 s[30:31], s[30:31], vcc
	v_and_b32_e32 v14, 15, v0
	s_mov_b32 s33, 0
	s_add_u32 s59, s10, 4
	v_mov_b32_e32 v2, 0x800
	s_mov_b32 s56, s17
	s_mov_b32 s57, s33
	v_cmp_eq_u32_e64 s[2:3], 15, v14
	v_subrev_u32_e32 v16, s18, v0
	s_mov_b32 s58, s33
	s_addc_u32 s60, s11, 0
	v_or_b32_e32 v17, 0xfffffe00, v0
	s_mov_b64 s[36:37], 0
	v_mov_b32_e32 v3, 0
	s_mov_b64 s[34:35], -1
	v_mov_b32_e32 v18, 0
	s_movk_i32 s61, 0x5ff
	v_mov_b32_e32 v19, 1
	s_branch .LBB28_9
.LBB28_8:                               ;   in Loop: Header=BB28_9 Depth=1
	s_or_b64 exec, exec, s[6:7]
	s_waitcnt lgkmcnt(0)
	s_barrier
	ds_read_b64 v[4:5], v18 offset:2048
	s_waitcnt lgkmcnt(0)
	s_barrier
	v_add_co_u32_e32 v2, vcc, 0x800, v4
	v_addc_co_u32_e32 v3, vcc, 0, v5, vcc
	v_cmp_gt_i64_e32 vcc, s[22:23], v[4:5]
	v_readfirstlane_b32 s36, v4
	v_readfirstlane_b32 s37, v5
	s_cbranch_vccz .LBB28_68
.LBB28_9:                               ; =>This Loop Header: Depth=1
                                        ;     Child Loop BB28_18 Depth 2
                                        ;       Child Loop BB28_26 Depth 3
                                        ;     Child Loop BB28_46 Depth 2
                                        ;     Child Loop BB28_58 Depth 2
	;; [unrolled: 1-line block ×4, first 2 shown]
	s_and_saveexec_b64 s[6:7], s[34:35]
	s_cbranch_execnz .LBB28_37
; %bb.10:                               ;   in Loop: Header=BB28_9 Depth=1
	s_or_b64 exec, exec, s[6:7]
	s_and_saveexec_b64 s[6:7], s[34:35]
	s_cbranch_execnz .LBB28_38
.LBB28_11:                              ;   in Loop: Header=BB28_9 Depth=1
	s_or_b64 exec, exec, s[6:7]
	s_and_saveexec_b64 s[6:7], s[34:35]
	s_cbranch_execnz .LBB28_39
.LBB28_12:                              ;   in Loop: Header=BB28_9 Depth=1
	s_or_b64 exec, exec, s[6:7]
	s_and_saveexec_b64 s[6:7], s[34:35]
	s_cbranch_execnz .LBB28_40
.LBB28_13:                              ;   in Loop: Header=BB28_9 Depth=1
	s_or_b64 exec, exec, s[6:7]
	s_and_saveexec_b64 s[6:7], s[0:1]
	s_cbranch_execz .LBB28_15
.LBB28_14:                              ;   in Loop: Header=BB28_9 Depth=1
	v_pk_mov_b32 v[4:5], s[22:23], s[22:23] op_sel:[0,1]
	ds_write_b64 v18, v[4:5] offset:2048
.LBB28_15:                              ;   in Loop: Header=BB28_9 Depth=1
	s_or_b64 exec, exec, s[6:7]
	v_pk_mov_b32 v[4:5], s[22:23], s[22:23] op_sel:[0,1]
	s_waitcnt lgkmcnt(0)
	s_barrier
	s_and_saveexec_b64 s[38:39], s[30:31]
	s_cbranch_execz .LBB28_42
; %bb.16:                               ;   in Loop: Header=BB28_9 Depth=1
	s_cmp_lg_u64 s[36:37], 0
	s_mov_b64 s[40:41], 0
	s_cselect_b64 s[42:43], -1, 0
	v_pk_mov_b32 v[4:5], s[22:23], s[22:23] op_sel:[0,1]
	v_mov_b32_e32 v6, v15
	s_branch .LBB28_18
.LBB28_17:                              ;   in Loop: Header=BB28_18 Depth=2
	s_or_b64 exec, exec, s[6:7]
	v_add_u32_e32 v6, 32, v6
	v_cmp_le_i32_e32 vcc, s19, v6
	s_or_b64 s[40:41], vcc, s[40:41]
	s_andn2_b64 exec, exec, s[40:41]
	s_cbranch_execz .LBB28_41
.LBB28_18:                              ;   Parent Loop BB28_9 Depth=1
                                        ; =>  This Loop Header: Depth=2
                                        ;       Child Loop BB28_26 Depth 3
	v_ashrrev_i32_e32 v7, 31, v6
	v_lshlrev_b64 v[8:9], 3, v[6:7]
	v_mov_b32_e32 v1, s9
	v_add_co_u32_e32 v8, vcc, s8, v8
	v_addc_co_u32_e32 v9, vcc, v1, v9, vcc
	global_load_dwordx2 v[10:11], v[8:9], off
	s_and_b64 vcc, exec, s[42:43]
	v_lshlrev_b64 v[8:9], 2, v[6:7]
	s_cbranch_vccz .LBB28_20
; %bb.19:                               ;   in Loop: Header=BB28_18 Depth=2
	v_mov_b32_e32 v1, s25
	v_add_co_u32_e32 v12, vcc, s24, v8
	v_addc_co_u32_e32 v13, vcc, v1, v9, vcc
	global_load_dword v1, v[12:13], off
	s_mov_b64 s[6:7], 0
	s_branch .LBB28_21
.LBB28_20:                              ;   in Loop: Header=BB28_18 Depth=2
	s_mov_b64 s[6:7], -1
                                        ; implicit-def: $vgpr1
.LBB28_21:                              ;   in Loop: Header=BB28_18 Depth=2
	v_mov_b32_e32 v7, s33
	s_waitcnt vmcnt(0)
	v_subrev_co_u32_e32 v10, vcc, s16, v10
	v_subb_co_u32_e32 v11, vcc, v11, v7, vcc
	s_andn2_b64 vcc, exec, s[6:7]
	v_lshlrev_b64 v[10:11], 2, v[10:11]
	s_cbranch_vccnz .LBB28_23
; %bb.22:                               ;   in Loop: Header=BB28_18 Depth=2
	v_mov_b32_e32 v1, s11
	v_add_co_u32_e32 v12, vcc, s10, v10
	v_addc_co_u32_e32 v13, vcc, v1, v11, vcc
	global_load_dword v1, v[12:13], off
	s_waitcnt vmcnt(0)
	v_subrev_u32_e32 v1, s17, v1
.LBB28_23:                              ;   in Loop: Header=BB28_18 Depth=2
	v_mov_b32_e32 v7, s60
	v_add_co_u32_e32 v10, vcc, s59, v10
	v_addc_co_u32_e32 v11, vcc, v7, v11, vcc
	global_load_dword v7, v[10:11], off
	v_add_u32_e32 v1, v1, v14
	s_waitcnt vmcnt(0)
	v_subrev_u32_e32 v7, s17, v7
	v_cmp_lt_i32_e32 vcc, v1, v7
	s_and_saveexec_b64 s[44:45], vcc
	s_cbranch_execz .LBB28_35
; %bb.24:                               ;   in Loop: Header=BB28_18 Depth=2
	s_mov_b64 s[48:49], 0
	v_mov_b32_e32 v12, v1
                                        ; implicit-def: $sgpr46_sgpr47
                                        ; implicit-def: $sgpr50_sgpr51
	s_branch .LBB28_26
.LBB28_25:                              ;   in Loop: Header=BB28_26 Depth=3
	s_or_b64 exec, exec, s[52:53]
	s_and_b64 s[6:7], exec, s[54:55]
	s_or_b64 s[48:49], s[6:7], s[48:49]
	s_andn2_b64 s[6:7], s[46:47], exec
	s_and_b64 s[46:47], s[50:51], exec
	s_or_b64 s[46:47], s[6:7], s[46:47]
	v_mov_b32_e32 v12, v20
	s_andn2_b64 exec, exec, s[48:49]
	s_cbranch_execz .LBB28_32
.LBB28_26:                              ;   Parent Loop BB28_9 Depth=1
                                        ;     Parent Loop BB28_18 Depth=2
                                        ; =>    This Inner Loop Header: Depth=3
	v_ashrrev_i32_e32 v13, 31, v12
	v_lshlrev_b64 v[10:11], 3, v[12:13]
	v_mov_b32_e32 v13, s13
	v_add_co_u32_e32 v10, vcc, s12, v10
	v_addc_co_u32_e32 v11, vcc, v13, v11, vcc
	global_load_dwordx2 v[10:11], v[10:11], off
	v_mov_b32_e32 v13, s57
	s_waitcnt vmcnt(0)
	v_subrev_co_u32_e32 v10, vcc, s56, v10
	v_subb_co_u32_e32 v11, vcc, v11, v13, vcc
	v_cmp_lt_i64_e32 vcc, v[10:11], v[2:3]
	v_cmp_gt_i64_e64 s[6:7], s[36:37], v[10:11]
	s_xor_b64 s[52:53], vcc, -1
	s_or_b64 s[54:55], s[6:7], s[52:53]
	s_mov_b64 s[6:7], 0
                                        ; implicit-def: $sgpr52_sgpr53
	s_and_saveexec_b64 s[62:63], s[54:55]
	s_xor_b64 s[54:55], exec, s[62:63]
; %bb.27:                               ;   in Loop: Header=BB28_26 Depth=3
	s_mov_b64 s[52:53], -1
	s_and_b64 s[6:7], vcc, exec
; %bb.28:                               ;   in Loop: Header=BB28_26 Depth=3
	s_andn2_saveexec_b64 s[54:55], s[54:55]
	s_cbranch_execz .LBB28_30
; %bb.29:                               ;   in Loop: Header=BB28_26 Depth=3
	v_subrev_u32_e32 v13, s36, v10
	s_or_b64 s[6:7], s[6:7], exec
	ds_write_b8 v13, v19
.LBB28_30:                              ;   in Loop: Header=BB28_26 Depth=3
	s_or_b64 exec, exec, s[54:55]
	s_andn2_b64 s[50:51], s[50:51], exec
	s_and_b64 s[52:53], s[52:53], exec
	s_mov_b64 s[54:55], -1
	s_or_b64 s[50:51], s[50:51], s[52:53]
	v_mov_b32_e32 v13, v12
                                        ; implicit-def: $vgpr20
	s_and_saveexec_b64 s[52:53], s[6:7]
	s_cbranch_execz .LBB28_25
; %bb.31:                               ;   in Loop: Header=BB28_26 Depth=3
	v_add_u32_e32 v20, 16, v12
	v_cmp_ge_i32_e32 vcc, v20, v7
	s_andn2_b64 s[50:51], s[50:51], exec
	s_orn2_b64 s[54:55], vcc, exec
	v_mov_b32_e32 v13, v12
	s_branch .LBB28_25
.LBB28_32:                              ;   in Loop: Header=BB28_18 Depth=2
	s_or_b64 exec, exec, s[48:49]
	s_and_saveexec_b64 s[6:7], s[46:47]
	s_xor_b64 s[6:7], exec, s[6:7]
; %bb.33:                               ;   in Loop: Header=BB28_18 Depth=2
	v_cmp_lt_i64_e32 vcc, v[10:11], v[4:5]
	v_cndmask_b32_e32 v5, v5, v11, vcc
	v_cndmask_b32_e32 v4, v4, v10, vcc
	v_mov_b32_e32 v1, v13
; %bb.34:                               ;   in Loop: Header=BB28_18 Depth=2
	s_or_b64 exec, exec, s[6:7]
.LBB28_35:                              ;   in Loop: Header=BB28_18 Depth=2
	s_or_b64 exec, exec, s[44:45]
	v_mov_b32_dpp v7, v1 row_shr:1 row_mask:0xf bank_mask:0xf
	v_min_i32_e32 v1, v7, v1
	s_nop 1
	v_mov_b32_dpp v7, v1 row_shr:2 row_mask:0xf bank_mask:0xf
	v_min_i32_e32 v1, v7, v1
	s_nop 1
	;; [unrolled: 3-line block ×3, first 2 shown]
	v_mov_b32_dpp v7, v1 row_shr:8 row_mask:0xf bank_mask:0xc
	s_and_saveexec_b64 s[6:7], s[2:3]
	s_cbranch_execz .LBB28_17
; %bb.36:                               ;   in Loop: Header=BB28_18 Depth=2
	v_mov_b32_e32 v10, s25
	v_add_co_u32_e32 v8, vcc, s24, v8
	v_addc_co_u32_e32 v9, vcc, v10, v9, vcc
	v_min_i32_e32 v1, v7, v1
	global_store_dword v[8:9], v1, off
	s_branch .LBB28_17
.LBB28_37:                              ;   in Loop: Header=BB28_9 Depth=1
	ds_write_b8 v0, v18
	s_or_b64 exec, exec, s[6:7]
	s_and_saveexec_b64 s[6:7], s[34:35]
	s_cbranch_execz .LBB28_11
.LBB28_38:                              ;   in Loop: Header=BB28_9 Depth=1
	ds_write_b8 v0, v18 offset:512
	s_or_b64 exec, exec, s[6:7]
	s_and_saveexec_b64 s[6:7], s[34:35]
	s_cbranch_execz .LBB28_12
.LBB28_39:                              ;   in Loop: Header=BB28_9 Depth=1
	ds_write_b8 v0, v18 offset:1024
	s_or_b64 exec, exec, s[6:7]
	s_and_saveexec_b64 s[6:7], s[34:35]
	s_cbranch_execz .LBB28_13
.LBB28_40:                              ;   in Loop: Header=BB28_9 Depth=1
	ds_write_b8 v0, v18 offset:1536
	s_or_b64 exec, exec, s[6:7]
	s_and_saveexec_b64 s[6:7], s[0:1]
	s_cbranch_execnz .LBB28_14
	s_branch .LBB28_15
.LBB28_41:                              ;   in Loop: Header=BB28_9 Depth=1
	s_or_b64 exec, exec, s[40:41]
.LBB28_42:                              ;   in Loop: Header=BB28_9 Depth=1
	s_or_b64 exec, exec, s[38:39]
	s_andn2_b64 vcc, exec, s[28:29]
	s_cbranch_vccnz .LBB28_56
; %bb.43:                               ;   in Loop: Header=BB28_9 Depth=1
	s_load_dwordx2 s[6:7], s[14:15], 0x0
	s_waitcnt lgkmcnt(0)
	s_sub_i32 s50, s7, s18
	v_add_u32_e32 v6, s6, v16
	v_cmp_gt_i32_e32 vcc, s50, v6
	s_and_saveexec_b64 s[38:39], vcc
	s_cbranch_execz .LBB28_55
; %bb.44:                               ;   in Loop: Header=BB28_9 Depth=1
	s_mov_b64 s[40:41], 0
                                        ; implicit-def: $sgpr42_sgpr43
                                        ; implicit-def: $sgpr44_sgpr45
	s_branch .LBB28_46
.LBB28_45:                              ;   in Loop: Header=BB28_46 Depth=2
	s_or_b64 exec, exec, s[46:47]
	s_and_b64 s[6:7], exec, s[48:49]
	s_or_b64 s[40:41], s[6:7], s[40:41]
	s_andn2_b64 s[6:7], s[42:43], exec
	s_and_b64 s[42:43], s[44:45], exec
	s_or_b64 s[42:43], s[6:7], s[42:43]
	s_andn2_b64 exec, exec, s[40:41]
	s_cbranch_execz .LBB28_52
.LBB28_46:                              ;   Parent Loop BB28_9 Depth=1
                                        ; =>  This Inner Loop Header: Depth=2
	v_ashrrev_i32_e32 v7, 31, v6
	v_lshlrev_b64 v[8:9], 3, v[6:7]
	v_mov_b32_e32 v1, s27
	v_add_co_u32_e32 v8, vcc, s26, v8
	v_addc_co_u32_e32 v9, vcc, v1, v9, vcc
	global_load_dwordx2 v[8:9], v[8:9], off
	v_mov_b32_e32 v1, s58
	s_waitcnt vmcnt(0)
	v_subrev_co_u32_e32 v8, vcc, s18, v8
	v_subb_co_u32_e32 v9, vcc, v9, v1, vcc
	v_cmp_lt_i64_e32 vcc, v[8:9], v[2:3]
	v_cmp_gt_i64_e64 s[6:7], s[36:37], v[8:9]
	s_xor_b64 s[46:47], vcc, -1
	s_or_b64 s[48:49], s[6:7], s[46:47]
	s_mov_b64 s[6:7], 0
                                        ; implicit-def: $sgpr46_sgpr47
	s_and_saveexec_b64 s[52:53], s[48:49]
	s_xor_b64 s[48:49], exec, s[52:53]
; %bb.47:                               ;   in Loop: Header=BB28_46 Depth=2
	s_mov_b64 s[46:47], -1
	s_and_b64 s[6:7], vcc, exec
; %bb.48:                               ;   in Loop: Header=BB28_46 Depth=2
	s_andn2_saveexec_b64 s[48:49], s[48:49]
	s_cbranch_execz .LBB28_50
; %bb.49:                               ;   in Loop: Header=BB28_46 Depth=2
	v_subrev_u32_e32 v1, s36, v8
	s_or_b64 s[6:7], s[6:7], exec
	ds_write_b8 v1, v19
.LBB28_50:                              ;   in Loop: Header=BB28_46 Depth=2
	s_or_b64 exec, exec, s[48:49]
	s_andn2_b64 s[44:45], s[44:45], exec
	s_and_b64 s[46:47], s[46:47], exec
	s_mov_b64 s[48:49], -1
	s_or_b64 s[44:45], s[44:45], s[46:47]
	s_and_saveexec_b64 s[46:47], s[6:7]
	s_cbranch_execz .LBB28_45
; %bb.51:                               ;   in Loop: Header=BB28_46 Depth=2
	v_add_u32_e32 v6, 0x200, v6
	v_cmp_le_i32_e32 vcc, s50, v6
	s_andn2_b64 s[44:45], s[44:45], exec
	s_orn2_b64 s[48:49], vcc, exec
	s_branch .LBB28_45
.LBB28_52:                              ;   in Loop: Header=BB28_9 Depth=1
	s_or_b64 exec, exec, s[40:41]
	s_and_saveexec_b64 s[6:7], s[42:43]
	s_xor_b64 s[6:7], exec, s[6:7]
; %bb.53:                               ;   in Loop: Header=BB28_9 Depth=1
	v_cmp_lt_i64_e32 vcc, v[8:9], v[4:5]
	v_cndmask_b32_e32 v5, v5, v9, vcc
	v_cndmask_b32_e32 v4, v4, v8, vcc
; %bb.54:                               ;   in Loop: Header=BB28_9 Depth=1
	s_or_b64 exec, exec, s[6:7]
.LBB28_55:                              ;   in Loop: Header=BB28_9 Depth=1
	s_or_b64 exec, exec, s[38:39]
.LBB28_56:                              ;   in Loop: Header=BB28_9 Depth=1
	v_mov_b32_dpp v2, v4 row_shr:1 row_mask:0xf bank_mask:0xf
	v_mov_b32_dpp v3, v5 row_shr:1 row_mask:0xf bank_mask:0xf
	v_cmp_lt_i64_e32 vcc, v[2:3], v[4:5]
	v_cndmask_b32_e32 v3, v5, v3, vcc
	v_cndmask_b32_e32 v2, v4, v2, vcc
	s_nop 0
	v_mov_b32_dpp v5, v3 row_shr:2 row_mask:0xf bank_mask:0xf
	v_mov_b32_dpp v4, v2 row_shr:2 row_mask:0xf bank_mask:0xf
	v_cmp_lt_i64_e32 vcc, v[4:5], v[2:3]
	v_cndmask_b32_e32 v3, v3, v5, vcc
	v_cndmask_b32_e32 v2, v2, v4, vcc
	s_nop 0
	;; [unrolled: 6-line block ×3, first 2 shown]
	v_mov_b32_dpp v5, v3 row_shr:8 row_mask:0xf bank_mask:0xc
	v_mov_b32_dpp v4, v2 row_shr:8 row_mask:0xf bank_mask:0xc
	s_and_saveexec_b64 s[6:7], s[2:3]
	s_cbranch_execz .LBB28_61
; %bb.57:                               ;   in Loop: Header=BB28_9 Depth=1
	v_cmp_lt_i64_e32 vcc, v[4:5], v[2:3]
	s_mov_b64 s[38:39], exec
	v_cndmask_b32_e32 v1, v3, v5, vcc
	v_cndmask_b32_e32 v2, v2, v4, vcc
	s_mov_b64 s[36:37], -1
.LBB28_58:                              ;   Parent Loop BB28_9 Depth=1
                                        ; =>  This Inner Loop Header: Depth=2
	s_ff1_i32_b64 s42, s[38:39]
	v_readlane_b32 s43, v1, s42
	v_readlane_b32 s44, v2, s42
	v_mov_b32_e32 v4, s44
	v_mov_b32_e32 v5, s43
	v_cmp_lt_u64_e32 vcc, s[36:37], v[4:5]
	s_and_b64 s[40:41], vcc, exec
	s_cselect_b32 s37, s37, s43
	s_cselect_b32 s36, s36, s44
	s_lshl_b64 s[40:41], 1, s42
	s_andn2_b64 s[38:39], s[38:39], s[40:41]
	s_cmp_lg_u64 s[38:39], 0
	s_cbranch_scc1 .LBB28_58
; %bb.59:                               ;   in Loop: Header=BB28_9 Depth=1
	v_mbcnt_lo_u32_b32 v1, exec_lo, 0
	v_mbcnt_hi_u32_b32 v1, exec_hi, v1
	v_cmp_eq_u32_e32 vcc, 0, v1
	s_and_saveexec_b64 s[38:39], vcc
	s_xor_b64 s[38:39], exec, s[38:39]
	s_cbranch_execz .LBB28_61
; %bb.60:                               ;   in Loop: Header=BB28_9 Depth=1
	v_pk_mov_b32 v[2:3], s[36:37], s[36:37] op_sel:[0,1]
	ds_min_u64 v18, v[2:3] offset:2048
.LBB28_61:                              ;   in Loop: Header=BB28_9 Depth=1
	s_or_b64 exec, exec, s[6:7]
	s_mov_b64 s[6:7], 0
	v_pk_mov_b32 v[2:3], 0, 0
	v_mov_b32_e32 v1, v17
	s_waitcnt lgkmcnt(0)
	s_barrier
.LBB28_62:                              ;   Parent Loop BB28_9 Depth=1
                                        ; =>  This Inner Loop Header: Depth=2
	ds_read_u8 v4, v1 offset:512
	v_add_u32_e32 v1, 0x200, v1
	v_cmp_lt_u32_e32 vcc, s61, v1
	s_or_b64 s[6:7], vcc, s[6:7]
	s_waitcnt lgkmcnt(0)
	v_and_b32_e32 v4, 0xffff, v4
	v_add_co_u32_e32 v2, vcc, v2, v4
	v_addc_co_u32_e32 v3, vcc, 0, v3, vcc
	s_andn2_b64 exec, exec, s[6:7]
	s_cbranch_execnz .LBB28_62
; %bb.63:                               ;   in Loop: Header=BB28_9 Depth=1
	s_or_b64 exec, exec, s[6:7]
	v_mov_b32_dpp v1, v2 row_shr:1 row_mask:0xf bank_mask:0xf
	v_add_co_u32_e32 v1, vcc, v2, v1
	v_addc_co_u32_e32 v2, vcc, 0, v3, vcc
	v_mov_b32_dpp v4, v3 row_shr:1 row_mask:0xf bank_mask:0xf
	v_add_co_u32_e32 v3, vcc, 0, v1
	v_addc_co_u32_e32 v2, vcc, v4, v2, vcc
	v_mov_b32_dpp v1, v1 row_shr:2 row_mask:0xf bank_mask:0xf
	v_add_co_u32_e32 v1, vcc, v3, v1
	v_mov_b32_dpp v4, v2 row_shr:2 row_mask:0xf bank_mask:0xf
	v_addc_co_u32_e32 v2, vcc, 0, v2, vcc
	v_add_co_u32_e32 v3, vcc, 0, v1
	v_addc_co_u32_e32 v2, vcc, v2, v4, vcc
	v_mov_b32_dpp v1, v1 row_shr:4 row_mask:0xf bank_mask:0xe
	s_nop 0
	v_mov_b32_dpp v4, v2 row_shr:4 row_mask:0xf bank_mask:0xe
	v_add_co_u32_e32 v1, vcc, v1, v3
	v_addc_co_u32_e32 v2, vcc, v4, v2, vcc
	s_nop 0
	v_mov_b32_dpp v3, v1 row_shr:8 row_mask:0xf bank_mask:0xc
	v_mov_b32_dpp v4, v2 row_shr:8 row_mask:0xf bank_mask:0xc
	s_and_saveexec_b64 s[6:7], s[2:3]
	s_cbranch_execz .LBB28_8
; %bb.64:                               ;   in Loop: Header=BB28_9 Depth=1
	v_add_co_u32_e32 v1, vcc, v3, v1
	s_mov_b64 s[38:39], exec
	v_addc_co_u32_e32 v2, vcc, v4, v2, vcc
	s_mov_b64 s[36:37], 0
.LBB28_65:                              ;   Parent Loop BB28_9 Depth=1
                                        ; =>  This Inner Loop Header: Depth=2
	s_ff1_i32_b64 s40, s[38:39]
	v_readlane_b32 s42, v1, s40
	v_readlane_b32 s41, v2, s40
	s_add_u32 s36, s36, s42
	s_addc_u32 s37, s37, s41
	s_lshl_b64 s[40:41], 1, s40
	s_andn2_b64 s[38:39], s[38:39], s[40:41]
	s_cmp_lg_u64 s[38:39], 0
	s_cbranch_scc1 .LBB28_65
; %bb.66:                               ;   in Loop: Header=BB28_9 Depth=1
	v_mbcnt_lo_u32_b32 v1, exec_lo, 0
	v_mbcnt_hi_u32_b32 v1, exec_hi, v1
	v_cmp_eq_u32_e32 vcc, 0, v1
	s_and_saveexec_b64 s[38:39], vcc
	s_xor_b64 s[38:39], exec, s[38:39]
	s_cbranch_execz .LBB28_8
; %bb.67:                               ;   in Loop: Header=BB28_9 Depth=1
	v_pk_mov_b32 v[2:3], s[36:37], s[36:37] op_sel:[0,1]
	ds_add_u64 v18, v[2:3] offset:2056
	s_branch .LBB28_8
.LBB28_68:
	s_and_saveexec_b64 s[2:3], s[0:1]
	s_cbranch_execz .LBB28_70
; %bb.69:
	s_load_dwordx2 s[0:1], s[4:5], 0x48
	v_mov_b32_e32 v0, 0
	ds_read_b32 v1, v0 offset:2056
	s_lshl_b64 s[2:3], s[20:21], 2
	s_waitcnt lgkmcnt(0)
	s_add_u32 s0, s0, s2
	s_addc_u32 s1, s1, s3
	global_store_dword v0, v1, s[0:1]
.LBB28_70:
	s_endpgm
	.section	.rodata,"a",@progbits
	.p2align	6, 0x0
	.amdhsa_kernel _ZN9rocsparseL35csrgemm_nnz_block_per_row_multipassILj512ELj16ELj2048EilEEvT3_PKS1_S3_PKT2_S3_S6_S3_S6_S3_PS4_S7_21rocsparse_index_base_S8_S8_bb
		.amdhsa_group_segment_fixed_size 2064
		.amdhsa_private_segment_fixed_size 0
		.amdhsa_kernarg_size 104
		.amdhsa_user_sgpr_count 6
		.amdhsa_user_sgpr_private_segment_buffer 1
		.amdhsa_user_sgpr_dispatch_ptr 0
		.amdhsa_user_sgpr_queue_ptr 0
		.amdhsa_user_sgpr_kernarg_segment_ptr 1
		.amdhsa_user_sgpr_dispatch_id 0
		.amdhsa_user_sgpr_flat_scratch_init 0
		.amdhsa_user_sgpr_kernarg_preload_length 0
		.amdhsa_user_sgpr_kernarg_preload_offset 0
		.amdhsa_user_sgpr_private_segment_size 0
		.amdhsa_uses_dynamic_stack 0
		.amdhsa_system_sgpr_private_segment_wavefront_offset 0
		.amdhsa_system_sgpr_workgroup_id_x 1
		.amdhsa_system_sgpr_workgroup_id_y 0
		.amdhsa_system_sgpr_workgroup_id_z 0
		.amdhsa_system_sgpr_workgroup_info 0
		.amdhsa_system_vgpr_workitem_id 0
		.amdhsa_next_free_vgpr 21
		.amdhsa_next_free_sgpr 64
		.amdhsa_accum_offset 24
		.amdhsa_reserve_vcc 1
		.amdhsa_reserve_flat_scratch 0
		.amdhsa_float_round_mode_32 0
		.amdhsa_float_round_mode_16_64 0
		.amdhsa_float_denorm_mode_32 3
		.amdhsa_float_denorm_mode_16_64 3
		.amdhsa_dx10_clamp 1
		.amdhsa_ieee_mode 1
		.amdhsa_fp16_overflow 0
		.amdhsa_tg_split 0
		.amdhsa_exception_fp_ieee_invalid_op 0
		.amdhsa_exception_fp_denorm_src 0
		.amdhsa_exception_fp_ieee_div_zero 0
		.amdhsa_exception_fp_ieee_overflow 0
		.amdhsa_exception_fp_ieee_underflow 0
		.amdhsa_exception_fp_ieee_inexact 0
		.amdhsa_exception_int_div_zero 0
	.end_amdhsa_kernel
	.section	.text._ZN9rocsparseL35csrgemm_nnz_block_per_row_multipassILj512ELj16ELj2048EilEEvT3_PKS1_S3_PKT2_S3_S6_S3_S6_S3_PS4_S7_21rocsparse_index_base_S8_S8_bb,"axG",@progbits,_ZN9rocsparseL35csrgemm_nnz_block_per_row_multipassILj512ELj16ELj2048EilEEvT3_PKS1_S3_PKT2_S3_S6_S3_S6_S3_PS4_S7_21rocsparse_index_base_S8_S8_bb,comdat
.Lfunc_end28:
	.size	_ZN9rocsparseL35csrgemm_nnz_block_per_row_multipassILj512ELj16ELj2048EilEEvT3_PKS1_S3_PKT2_S3_S6_S3_S6_S3_PS4_S7_21rocsparse_index_base_S8_S8_bb, .Lfunc_end28-_ZN9rocsparseL35csrgemm_nnz_block_per_row_multipassILj512ELj16ELj2048EilEEvT3_PKS1_S3_PKT2_S3_S6_S3_S6_S3_PS4_S7_21rocsparse_index_base_S8_S8_bb
                                        ; -- End function
	.section	.AMDGPU.csdata,"",@progbits
; Kernel info:
; codeLenInByte = 2152
; NumSgprs: 68
; NumVgprs: 21
; NumAgprs: 0
; TotalNumVgprs: 21
; ScratchSize: 0
; MemoryBound: 0
; FloatMode: 240
; IeeeMode: 1
; LDSByteSize: 2064 bytes/workgroup (compile time only)
; SGPRBlocks: 8
; VGPRBlocks: 2
; NumSGPRsForWavesPerEU: 68
; NumVGPRsForWavesPerEU: 21
; AccumOffset: 24
; Occupancy: 8
; WaveLimiterHint : 1
; COMPUTE_PGM_RSRC2:SCRATCH_EN: 0
; COMPUTE_PGM_RSRC2:USER_SGPR: 6
; COMPUTE_PGM_RSRC2:TRAP_HANDLER: 0
; COMPUTE_PGM_RSRC2:TGID_X_EN: 1
; COMPUTE_PGM_RSRC2:TGID_Y_EN: 0
; COMPUTE_PGM_RSRC2:TGID_Z_EN: 0
; COMPUTE_PGM_RSRC2:TIDIG_COMP_CNT: 0
; COMPUTE_PGM_RSRC3_GFX90A:ACCUM_OFFSET: 5
; COMPUTE_PGM_RSRC3_GFX90A:TG_SPLIT: 0
	.section	.text._ZN9rocsparseL29csrgemm_intermediate_productsILj256ELj8EliEEvT2_PKT1_PKS1_S4_S4_PS2_21rocsparse_index_base_bb,"axG",@progbits,_ZN9rocsparseL29csrgemm_intermediate_productsILj256ELj8EliEEvT2_PKT1_PKS1_S4_S4_PS2_21rocsparse_index_base_bb,comdat
	.globl	_ZN9rocsparseL29csrgemm_intermediate_productsILj256ELj8EliEEvT2_PKT1_PKS1_S4_S4_PS2_21rocsparse_index_base_bb ; -- Begin function _ZN9rocsparseL29csrgemm_intermediate_productsILj256ELj8EliEEvT2_PKT1_PKS1_S4_S4_PS2_21rocsparse_index_base_bb
	.p2align	8
	.type	_ZN9rocsparseL29csrgemm_intermediate_productsILj256ELj8EliEEvT2_PKT1_PKS1_S4_S4_PS2_21rocsparse_index_base_bb,@function
_ZN9rocsparseL29csrgemm_intermediate_productsILj256ELj8EliEEvT2_PKT1_PKS1_S4_S4_PS2_21rocsparse_index_base_bb: ; @_ZN9rocsparseL29csrgemm_intermediate_productsILj256ELj8EliEEvT2_PKT1_PKS1_S4_S4_PS2_21rocsparse_index_base_bb
; %bb.0:
	s_load_dword s0, s[4:5], 0x0
	v_lshl_or_b32 v1, s6, 8, v0
	v_lshrrev_b32_e32 v2, 3, v1
	s_waitcnt lgkmcnt(0)
	v_cmp_gt_i32_e32 vcc, s0, v2
	s_and_saveexec_b64 s[0:1], vcc
	s_cbranch_execz .LBB29_11
; %bb.1:
	s_load_dwordx2 s[6:7], s[4:5], 0x30
	s_load_dwordx4 s[0:3], s[4:5], 0x20
	v_and_b32_e32 v9, 7, v0
	v_pk_mov_b32 v[0:1], 0, 0
	v_lshlrev_b32_e32 v8, 3, v2
	s_waitcnt lgkmcnt(0)
	s_bitcmp0_b32 s7, 0
	s_cbranch_scc1 .LBB29_7
; %bb.2:
	s_load_dwordx2 s[8:9], s[4:5], 0x8
	v_subrev_co_u32_e32 v6, vcc, s6, v9
	s_waitcnt lgkmcnt(0)
	global_load_dwordx4 v[2:5], v8, s[8:9]
	v_subb_co_u32_e64 v7, s[8:9], 0, 0, vcc
	s_waitcnt vmcnt(0)
	v_subrev_co_u32_e32 v0, vcc, s6, v4
	v_subbrev_co_u32_e32 v1, vcc, 0, v5, vcc
	v_add_co_u32_e32 v2, vcc, v6, v2
	v_addc_co_u32_e32 v3, vcc, v7, v3, vcc
	v_cmp_lt_i64_e32 vcc, v[2:3], v[0:1]
	v_pk_mov_b32 v[4:5], 0, 0
	s_and_saveexec_b64 s[12:13], vcc
	s_cbranch_execz .LBB29_6
; %bb.3:
	s_load_dwordx4 s[8:11], s[4:5], 0x10
	v_lshlrev_b64 v[4:5], 2, v[2:3]
	s_waitcnt lgkmcnt(0)
	v_mov_b32_e32 v7, s9
	v_add_co_u32_e32 v6, vcc, s8, v4
	v_addc_co_u32_e32 v7, vcc, v7, v5, vcc
	s_mov_b64 s[8:9], 0
	v_pk_mov_b32 v[4:5], 0, 0
	v_mov_b32_e32 v10, s11
.LBB29_4:                               ; =>This Inner Loop Header: Depth=1
	global_load_dword v11, v[6:7], off
	s_waitcnt vmcnt(0)
	v_subrev_u32_e32 v12, s6, v11
	v_ashrrev_i32_e32 v13, 31, v12
	v_lshlrev_b64 v[12:13], 3, v[12:13]
	v_add_co_u32_e32 v12, vcc, s10, v12
	v_addc_co_u32_e32 v13, vcc, v10, v13, vcc
	global_load_dwordx4 v[12:15], v[12:13], off
	v_add_co_u32_e32 v2, vcc, 8, v2
	v_addc_co_u32_e32 v3, vcc, 0, v3, vcc
	v_add_co_u32_e32 v6, vcc, 32, v6
	v_addc_co_u32_e32 v7, vcc, 0, v7, vcc
	v_cmp_ge_i64_e32 vcc, v[2:3], v[0:1]
	s_or_b64 s[8:9], vcc, s[8:9]
	s_waitcnt vmcnt(0)
	v_add_co_u32_e32 v4, vcc, v14, v4
	v_addc_co_u32_e32 v5, vcc, v15, v5, vcc
	v_sub_co_u32_e32 v4, vcc, v4, v12
	v_subb_co_u32_e32 v5, vcc, v5, v13, vcc
	s_andn2_b64 exec, exec, s[8:9]
	s_cbranch_execnz .LBB29_4
; %bb.5:
	s_or_b64 exec, exec, s[8:9]
.LBB29_6:
	s_or_b64 exec, exec, s[12:13]
	v_mov_b32_dpp v0, v4 row_shr:1 row_mask:0xf bank_mask:0xf
	v_add_co_u32_e32 v0, vcc, v4, v0
	v_addc_co_u32_e32 v2, vcc, 0, v5, vcc
	v_mov_b32_dpp v1, v5 row_shr:1 row_mask:0xf bank_mask:0xf
	v_add_co_u32_e32 v3, vcc, 0, v0
	v_addc_co_u32_e32 v1, vcc, v1, v2, vcc
	v_mov_b32_dpp v0, v0 row_shr:2 row_mask:0xf bank_mask:0xf
	v_add_co_u32_e32 v0, vcc, v3, v0
	v_mov_b32_dpp v2, v1 row_shr:2 row_mask:0xf bank_mask:0xf
	v_addc_co_u32_e32 v1, vcc, 0, v1, vcc
	v_add_co_u32_e32 v3, vcc, 0, v0
	v_addc_co_u32_e32 v1, vcc, v1, v2, vcc
	v_mov_b32_dpp v0, v0 row_shr:4 row_mask:0xf bank_mask:0xe
	s_nop 0
	v_mov_b32_dpp v2, v1 row_shr:4 row_mask:0xf bank_mask:0xe
	v_add_co_u32_e32 v0, vcc, v0, v3
	v_addc_co_u32_e32 v1, vcc, v2, v1, vcc
.LBB29_7:
	v_cmp_eq_u32_e32 vcc, 7, v9
	s_and_b64 exec, exec, vcc
	s_cbranch_execz .LBB29_11
; %bb.8:
	s_load_dword s4, s[4:5], 0x34
	s_waitcnt lgkmcnt(0)
	s_bfe_u32 s4, s4, 0x10008
	s_cmp_eq_u32 s4, 0
	s_cbranch_scc1 .LBB29_10
; %bb.9:
	global_load_dwordx4 v[2:5], v8, s[0:1]
	s_waitcnt vmcnt(0)
	v_add_co_u32_e32 v0, vcc, v4, v0
	v_addc_co_u32_e32 v1, vcc, v5, v1, vcc
	v_sub_co_u32_e32 v0, vcc, v0, v2
	v_subb_co_u32_e32 v1, vcc, v1, v3, vcc
.LBB29_10:
	global_store_dwordx2 v8, v[0:1], s[2:3]
.LBB29_11:
	s_endpgm
	.section	.rodata,"a",@progbits
	.p2align	6, 0x0
	.amdhsa_kernel _ZN9rocsparseL29csrgemm_intermediate_productsILj256ELj8EliEEvT2_PKT1_PKS1_S4_S4_PS2_21rocsparse_index_base_bb
		.amdhsa_group_segment_fixed_size 0
		.amdhsa_private_segment_fixed_size 0
		.amdhsa_kernarg_size 56
		.amdhsa_user_sgpr_count 6
		.amdhsa_user_sgpr_private_segment_buffer 1
		.amdhsa_user_sgpr_dispatch_ptr 0
		.amdhsa_user_sgpr_queue_ptr 0
		.amdhsa_user_sgpr_kernarg_segment_ptr 1
		.amdhsa_user_sgpr_dispatch_id 0
		.amdhsa_user_sgpr_flat_scratch_init 0
		.amdhsa_user_sgpr_kernarg_preload_length 0
		.amdhsa_user_sgpr_kernarg_preload_offset 0
		.amdhsa_user_sgpr_private_segment_size 0
		.amdhsa_uses_dynamic_stack 0
		.amdhsa_system_sgpr_private_segment_wavefront_offset 0
		.amdhsa_system_sgpr_workgroup_id_x 1
		.amdhsa_system_sgpr_workgroup_id_y 0
		.amdhsa_system_sgpr_workgroup_id_z 0
		.amdhsa_system_sgpr_workgroup_info 0
		.amdhsa_system_vgpr_workitem_id 0
		.amdhsa_next_free_vgpr 16
		.amdhsa_next_free_sgpr 14
		.amdhsa_accum_offset 16
		.amdhsa_reserve_vcc 1
		.amdhsa_reserve_flat_scratch 0
		.amdhsa_float_round_mode_32 0
		.amdhsa_float_round_mode_16_64 0
		.amdhsa_float_denorm_mode_32 3
		.amdhsa_float_denorm_mode_16_64 3
		.amdhsa_dx10_clamp 1
		.amdhsa_ieee_mode 1
		.amdhsa_fp16_overflow 0
		.amdhsa_tg_split 0
		.amdhsa_exception_fp_ieee_invalid_op 0
		.amdhsa_exception_fp_denorm_src 0
		.amdhsa_exception_fp_ieee_div_zero 0
		.amdhsa_exception_fp_ieee_overflow 0
		.amdhsa_exception_fp_ieee_underflow 0
		.amdhsa_exception_fp_ieee_inexact 0
		.amdhsa_exception_int_div_zero 0
	.end_amdhsa_kernel
	.section	.text._ZN9rocsparseL29csrgemm_intermediate_productsILj256ELj8EliEEvT2_PKT1_PKS1_S4_S4_PS2_21rocsparse_index_base_bb,"axG",@progbits,_ZN9rocsparseL29csrgemm_intermediate_productsILj256ELj8EliEEvT2_PKT1_PKS1_S4_S4_PS2_21rocsparse_index_base_bb,comdat
.Lfunc_end29:
	.size	_ZN9rocsparseL29csrgemm_intermediate_productsILj256ELj8EliEEvT2_PKT1_PKS1_S4_S4_PS2_21rocsparse_index_base_bb, .Lfunc_end29-_ZN9rocsparseL29csrgemm_intermediate_productsILj256ELj8EliEEvT2_PKT1_PKS1_S4_S4_PS2_21rocsparse_index_base_bb
                                        ; -- End function
	.section	.AMDGPU.csdata,"",@progbits
; Kernel info:
; codeLenInByte = 476
; NumSgprs: 18
; NumVgprs: 16
; NumAgprs: 0
; TotalNumVgprs: 16
; ScratchSize: 0
; MemoryBound: 1
; FloatMode: 240
; IeeeMode: 1
; LDSByteSize: 0 bytes/workgroup (compile time only)
; SGPRBlocks: 2
; VGPRBlocks: 1
; NumSGPRsForWavesPerEU: 18
; NumVGPRsForWavesPerEU: 16
; AccumOffset: 16
; Occupancy: 8
; WaveLimiterHint : 1
; COMPUTE_PGM_RSRC2:SCRATCH_EN: 0
; COMPUTE_PGM_RSRC2:USER_SGPR: 6
; COMPUTE_PGM_RSRC2:TRAP_HANDLER: 0
; COMPUTE_PGM_RSRC2:TGID_X_EN: 1
; COMPUTE_PGM_RSRC2:TGID_Y_EN: 0
; COMPUTE_PGM_RSRC2:TGID_Z_EN: 0
; COMPUTE_PGM_RSRC2:TIDIG_COMP_CNT: 0
; COMPUTE_PGM_RSRC3_GFX90A:ACCUM_OFFSET: 3
; COMPUTE_PGM_RSRC3_GFX90A:TG_SPLIT: 0
	.section	.text._ZN9rocsparseL26csrgemm_group_reduce_part1ILj256ELj11EliEEvT2_PT1_PS1_j,"axG",@progbits,_ZN9rocsparseL26csrgemm_group_reduce_part1ILj256ELj11EliEEvT2_PT1_PS1_j,comdat
	.globl	_ZN9rocsparseL26csrgemm_group_reduce_part1ILj256ELj11EliEEvT2_PT1_PS1_j ; -- Begin function _ZN9rocsparseL26csrgemm_group_reduce_part1ILj256ELj11EliEEvT2_PT1_PS1_j
	.p2align	8
	.type	_ZN9rocsparseL26csrgemm_group_reduce_part1ILj256ELj11EliEEvT2_PT1_PS1_j,@function
_ZN9rocsparseL26csrgemm_group_reduce_part1ILj256ELj11EliEEvT2_PT1_PS1_j: ; @_ZN9rocsparseL26csrgemm_group_reduce_part1ILj256ELj11EliEEvT2_PT1_PS1_j
; %bb.0:
	s_load_dword s7, s[4:5], 0x0
	s_load_dwordx2 s[0:1], s[4:5], 0x10
	v_mul_u32_u24_e32 v1, 11, v0
	v_lshl_or_b32 v4, s6, 8, v0
	v_lshlrev_b32_e32 v1, 2, v1
	v_mov_b32_e32 v3, 0
	s_waitcnt lgkmcnt(0)
	v_cmp_gt_i32_e32 vcc, s7, v4
	ds_write2_b32 v1, v3, v3 offset1:1
	ds_write2_b32 v1, v3, v3 offset0:2 offset1:3
	ds_write2_b32 v1, v3, v3 offset0:4 offset1:5
	;; [unrolled: 1-line block ×4, first 2 shown]
	ds_write_b32 v1, v3 offset:40
	s_waitcnt lgkmcnt(0)
	s_and_saveexec_b64 s[2:3], vcc
	s_cbranch_execz .LBB30_21
; %bb.1:
	s_load_dwordx2 s[8:9], s[4:5], 0x8
	s_load_dword s12, s[4:5], 0x18
	s_load_dword s14, s[4:5], 0x20
	v_add_u32_e32 v12, 8, v1
	v_add_u32_e32 v13, 16, v1
	;; [unrolled: 1-line block ×3, first 2 shown]
	s_waitcnt lgkmcnt(0)
	s_cmp_lt_u32 s12, 0x10000
	s_cselect_b64 s[4:5], -1, 0
	s_cmp_lt_u32 s12, 0x20000
	s_cselect_b64 s[10:11], -1, 0
	s_cmp_lt_u32 s12, 0x40000
	v_add_u32_e32 v15, 32, v1
	v_add_u32_e32 v16, 40, v1
	;; [unrolled: 1-line block ×7, first 2 shown]
	s_cselect_b64 s[12:13], -1, 0
	s_lshl_b32 s33, s14, 8
	s_mov_b64 s[14:15], 0
	v_mov_b32_e32 v22, s9
	s_mov_b64 s[16:17], 0x200
	s_mov_b64 s[18:19], 0x400
	;; [unrolled: 1-line block ×8, first 2 shown]
	s_branch .LBB30_11
.LBB30_2:                               ;   in Loop: Header=BB30_11 Depth=1
	s_or_b64 exec, exec, s[50:51]
.LBB30_3:                               ;   in Loop: Header=BB30_11 Depth=1
	s_or_b64 exec, exec, s[48:49]
.LBB30_4:                               ;   in Loop: Header=BB30_11 Depth=1
	s_or_b64 exec, exec, s[46:47]
.LBB30_5:                               ;   in Loop: Header=BB30_11 Depth=1
	s_or_b64 exec, exec, s[44:45]
.LBB30_6:                               ;   in Loop: Header=BB30_11 Depth=1
	s_or_b64 exec, exec, s[42:43]
.LBB30_7:                               ;   in Loop: Header=BB30_11 Depth=1
	s_or_b64 exec, exec, s[40:41]
.LBB30_8:                               ;   in Loop: Header=BB30_11 Depth=1
	s_or_b64 exec, exec, s[38:39]
.LBB30_9:                               ;   in Loop: Header=BB30_11 Depth=1
	s_or_b64 exec, exec, s[36:37]
.LBB30_10:                              ;   in Loop: Header=BB30_11 Depth=1
	s_or_b64 exec, exec, s[34:35]
	ds_read_b32 v2, v5
	v_add_u32_e32 v4, s33, v4
	v_cmp_le_i32_e32 vcc, s7, v4
	s_or_b64 s[14:15], vcc, s[14:15]
	global_store_dwordx2 v[6:7], v[8:9], off
	s_waitcnt lgkmcnt(0)
	v_add_u32_e32 v2, 1, v2
	ds_write_b32 v5, v2
	s_andn2_b64 exec, exec, s[14:15]
	s_cbranch_execz .LBB30_21
.LBB30_11:                              ; =>This Inner Loop Header: Depth=1
	v_ashrrev_i32_e32 v5, 31, v4
	v_lshlrev_b64 v[6:7], 3, v[4:5]
	v_add_co_u32_e32 v6, vcc, s8, v6
	v_addc_co_u32_e32 v7, vcc, v22, v7, vcc
	global_load_dwordx2 v[10:11], v[6:7], off
	v_pk_mov_b32 v[8:9], 0, 0
	v_mov_b32_e32 v5, v1
	s_waitcnt vmcnt(0)
	v_cmp_lt_i64_e32 vcc, 32, v[10:11]
	s_and_saveexec_b64 s[34:35], vcc
	s_cbranch_execz .LBB30_10
; %bb.12:                               ;   in Loop: Header=BB30_11 Depth=1
	v_mov_b32_e32 v8, 1
	v_cmp_lt_u64_e32 vcc, 64, v[10:11]
	v_mov_b32_e32 v9, 0
	v_mov_b32_e32 v5, v17
	s_and_saveexec_b64 s[36:37], vcc
	s_cbranch_execz .LBB30_9
; %bb.13:                               ;   in Loop: Header=BB30_11 Depth=1
	v_mov_b32_e32 v8, 2
	v_cmp_lt_u64_e32 vcc, s[16:17], v[10:11]
	v_mov_b32_e32 v9, 0
	v_mov_b32_e32 v5, v12
	;; [unrolled: 7-line block ×6, first 2 shown]
	s_and_saveexec_b64 s[46:47], vcc
	s_cbranch_execz .LBB30_4
; %bb.18:                               ;   in Loop: Header=BB30_11 Depth=1
	v_cmp_lt_u64_e32 vcc, s[26:27], v[10:11]
	v_mov_b32_e32 v8, 7
	s_or_b64 s[50:51], s[4:5], vcc
	v_mov_b32_e32 v9, 0
	v_mov_b32_e32 v5, v20
	s_and_saveexec_b64 s[48:49], s[50:51]
	s_cbranch_execz .LBB30_3
; %bb.19:                               ;   in Loop: Header=BB30_11 Depth=1
	v_cmp_lt_u64_e32 vcc, s[28:29], v[10:11]
	v_mov_b32_e32 v8, 8
	s_or_b64 s[52:53], s[10:11], vcc
	v_mov_b32_e32 v9, 0
	v_mov_b32_e32 v5, v15
	s_and_saveexec_b64 s[50:51], s[52:53]
	s_cbranch_execz .LBB30_2
; %bb.20:                               ;   in Loop: Header=BB30_11 Depth=1
	v_cmp_lt_u64_e32 vcc, s[30:31], v[10:11]
	s_or_b64 vcc, s[12:13], vcc
	v_cndmask_b32_e64 v2, 9, 10, vcc
	v_cndmask_b32_e32 v5, v21, v16, vcc
	v_pk_mov_b32 v[8:9], v[2:3], v[2:3] op_sel:[0,1]
	s_branch .LBB30_2
.LBB30_21:
	s_or_b64 exec, exec, s[2:3]
	s_movk_i32 s2, 0x80
	v_cmp_gt_u32_e32 vcc, s2, v0
	s_waitcnt lgkmcnt(0)
	s_barrier
	s_barrier
	;; [unrolled: 1-line block ×3, first 2 shown]
	s_and_saveexec_b64 s[2:3], vcc
	s_cbranch_execz .LBB30_23
; %bb.22:
	v_add_u32_e32 v2, 0x1600, v1
	v_add_u32_e32 v4, 0x1608, v1
	v_add_u32_e32 v6, 0x1610, v1
	ds_read2_b32 v[2:3], v2 offset1:1
	ds_read2_b32 v[4:5], v4 offset1:1
	;; [unrolled: 1-line block ×4, first 2 shown]
	ds_read2_b32 v[10:11], v1 offset0:2 offset1:3
	ds_read2_b32 v[12:13], v1 offset0:4 offset1:5
	;; [unrolled: 1-line block ×4, first 2 shown]
	s_waitcnt lgkmcnt(4)
	v_add_u32_e32 v3, v9, v3
	v_add_u32_e32 v2, v8, v2
	ds_write2_b32 v1, v2, v3 offset1:1
	s_waitcnt lgkmcnt(4)
	v_add_u32_e32 v2, v11, v5
	v_add_u32_e32 v3, v10, v4
	ds_write2_b32 v1, v3, v2 offset0:2 offset1:3
	v_add_u32_e32 v2, 0x1618, v1
	ds_read2_b32 v[2:3], v2 offset1:1
	s_waitcnt lgkmcnt(5)
	v_add_u32_e32 v4, v13, v7
	v_add_u32_e32 v5, v12, v6
	ds_write2_b32 v1, v5, v4 offset0:4 offset1:5
	v_add_u32_e32 v4, 0x1620, v1
	ds_read2_b32 v[4:5], v4 offset1:1
	s_waitcnt lgkmcnt(2)
	v_add_u32_e32 v7, v14, v2
	v_add_u32_e32 v2, 40, v1
	;; [unrolled: 1-line block ×3, first 2 shown]
	ds_read2st64_b32 v[2:3], v2 offset1:22
	s_waitcnt lgkmcnt(1)
	v_add_u32_e32 v5, v17, v5
	v_add_u32_e32 v4, v16, v4
	ds_write2_b32 v1, v7, v6 offset0:6 offset1:7
	ds_write2_b32 v1, v4, v5 offset0:8 offset1:9
	s_waitcnt lgkmcnt(2)
	v_add_u32_e32 v2, v2, v3
	ds_write_b32 v1, v2 offset:40
.LBB30_23:
	s_or_b64 exec, exec, s[2:3]
	v_cmp_gt_u32_e32 vcc, 64, v0
	s_waitcnt lgkmcnt(0)
	s_barrier
	s_and_saveexec_b64 s[2:3], vcc
	s_cbranch_execz .LBB30_25
; %bb.24:
	v_add_u32_e32 v2, 0xb00, v1
	v_add_u32_e32 v4, 0xb08, v1
	;; [unrolled: 1-line block ×3, first 2 shown]
	ds_read2_b32 v[2:3], v2 offset1:1
	ds_read2_b32 v[4:5], v4 offset1:1
	ds_read2_b32 v[6:7], v6 offset1:1
	ds_read2_b32 v[8:9], v1 offset1:1
	ds_read2_b32 v[10:11], v1 offset0:2 offset1:3
	ds_read2_b32 v[12:13], v1 offset0:4 offset1:5
	;; [unrolled: 1-line block ×4, first 2 shown]
	s_waitcnt lgkmcnt(4)
	v_add_u32_e32 v3, v9, v3
	v_add_u32_e32 v2, v8, v2
	ds_write2_b32 v1, v2, v3 offset1:1
	s_waitcnt lgkmcnt(4)
	v_add_u32_e32 v2, v11, v5
	v_add_u32_e32 v3, v10, v4
	ds_write2_b32 v1, v3, v2 offset0:2 offset1:3
	v_add_u32_e32 v2, 0xb18, v1
	ds_read2_b32 v[2:3], v2 offset1:1
	s_waitcnt lgkmcnt(5)
	v_add_u32_e32 v4, v13, v7
	v_add_u32_e32 v5, v12, v6
	ds_write2_b32 v1, v5, v4 offset0:4 offset1:5
	v_add_u32_e32 v4, 0xb20, v1
	ds_read2_b32 v[4:5], v4 offset1:1
	s_waitcnt lgkmcnt(2)
	v_add_u32_e32 v7, v14, v2
	v_add_u32_e32 v2, 40, v1
	;; [unrolled: 1-line block ×3, first 2 shown]
	ds_read2st64_b32 v[2:3], v2 offset1:11
	s_waitcnt lgkmcnt(1)
	v_add_u32_e32 v5, v17, v5
	v_add_u32_e32 v4, v16, v4
	ds_write2_b32 v1, v7, v6 offset0:6 offset1:7
	ds_write2_b32 v1, v4, v5 offset0:8 offset1:9
	s_waitcnt lgkmcnt(2)
	v_add_u32_e32 v2, v2, v3
	ds_write_b32 v1, v2 offset:40
.LBB30_25:
	s_or_b64 exec, exec, s[2:3]
	v_cmp_gt_u32_e32 vcc, 32, v0
	s_waitcnt lgkmcnt(0)
	s_barrier
	s_and_saveexec_b64 s[2:3], vcc
	s_cbranch_execz .LBB30_27
; %bb.26:
	v_add_u32_e32 v2, 0x580, v1
	ds_read2_b32 v[2:3], v2 offset1:1
	ds_read2_b32 v[4:5], v1 offset1:1
	ds_read2_b32 v[6:7], v1 offset0:2 offset1:3
	ds_read2_b32 v[8:9], v1 offset0:4 offset1:5
	;; [unrolled: 1-line block ×3, first 2 shown]
	ds_read_b32 v16, v1 offset:1448
	s_waitcnt lgkmcnt(4)
	v_add_u32_e32 v3, v5, v3
	v_add_u32_e32 v2, v4, v2
	ds_write2_b32 v1, v2, v3 offset1:1
	v_add_u32_e32 v2, 0x588, v1
	ds_read2_b32 v[2:3], v2 offset1:1
	v_add_u32_e32 v4, 0x590, v1
	v_add_u32_e32 v12, 0x598, v1
	;; [unrolled: 1-line block ×3, first 2 shown]
	ds_read2_b32 v[4:5], v4 offset1:1
	ds_read2_b32 v[12:13], v12 offset1:1
	;; [unrolled: 1-line block ×3, first 2 shown]
	s_waitcnt lgkmcnt(3)
	v_add_u32_e32 v3, v7, v3
	v_add_u32_e32 v2, v6, v2
	ds_write2_b32 v1, v2, v3 offset0:2 offset1:3
	s_waitcnt lgkmcnt(3)
	v_add_u32_e32 v2, v9, v5
	v_add_u32_e32 v3, v8, v4
	ds_write2_b32 v1, v3, v2 offset0:4 offset1:5
	ds_read2_b32 v[2:3], v1 offset0:8 offset1:9
	ds_read_b32 v6, v1 offset:40
	s_waitcnt lgkmcnt(5)
	v_add_u32_e32 v4, v11, v13
	v_add_u32_e32 v5, v10, v12
	ds_write2_b32 v1, v5, v4 offset0:6 offset1:7
	s_waitcnt lgkmcnt(2)
	v_add_u32_e32 v3, v3, v15
	v_add_u32_e32 v2, v2, v14
	ds_write2_b32 v1, v2, v3 offset0:8 offset1:9
	s_waitcnt lgkmcnt(2)
	v_add_u32_e32 v2, v6, v16
	ds_write_b32 v1, v2 offset:40
.LBB30_27:
	s_or_b64 exec, exec, s[2:3]
	v_cmp_gt_u32_e32 vcc, 16, v0
	s_waitcnt lgkmcnt(0)
	s_barrier
	s_and_saveexec_b64 s[2:3], vcc
	s_cbranch_execz .LBB30_29
; %bb.28:
	ds_read2_b32 v[2:3], v1 offset0:176 offset1:177
	ds_read2_b32 v[4:5], v1 offset0:178 offset1:179
	ds_read2_b32 v[6:7], v1 offset0:180 offset1:181
	ds_read2_b32 v[8:9], v1 offset1:1
	ds_read2_b32 v[10:11], v1 offset0:2 offset1:3
	ds_read2_b32 v[12:13], v1 offset0:4 offset1:5
	ds_read2_b32 v[14:15], v1 offset0:6 offset1:7
	ds_read2_b32 v[16:17], v1 offset0:8 offset1:9
	s_waitcnt lgkmcnt(4)
	v_add_u32_e32 v3, v9, v3
	v_add_u32_e32 v2, v8, v2
	ds_write2_b32 v1, v2, v3 offset1:1
	s_waitcnt lgkmcnt(4)
	v_add_u32_e32 v2, v11, v5
	v_add_u32_e32 v3, v10, v4
	ds_write2_b32 v1, v3, v2 offset0:2 offset1:3
	ds_read2_b32 v[2:3], v1 offset0:182 offset1:183
	s_waitcnt lgkmcnt(5)
	v_add_u32_e32 v4, v13, v7
	v_add_u32_e32 v5, v12, v6
	ds_write2_b32 v1, v5, v4 offset0:4 offset1:5
	ds_read2_b32 v[4:5], v1 offset0:184 offset1:185
	s_waitcnt lgkmcnt(2)
	v_add_u32_e32 v6, v15, v3
	v_add_u32_e32 v7, v14, v2
	ds_read2_b32 v[2:3], v1 offset0:10 offset1:186
	ds_write2_b32 v1, v7, v6 offset0:6 offset1:7
	s_waitcnt lgkmcnt(2)
	v_add_u32_e32 v5, v17, v5
	v_add_u32_e32 v4, v16, v4
	ds_write2_b32 v1, v4, v5 offset0:8 offset1:9
	s_waitcnt lgkmcnt(2)
	v_add_u32_e32 v2, v2, v3
	ds_write_b32 v1, v2 offset:40
.LBB30_29:
	s_or_b64 exec, exec, s[2:3]
	v_cmp_gt_u32_e32 vcc, 8, v0
	s_waitcnt lgkmcnt(0)
	s_barrier
	s_and_saveexec_b64 s[2:3], vcc
	s_cbranch_execz .LBB30_31
; %bb.30:
	ds_read2_b32 v[2:3], v1 offset0:88 offset1:89
	ds_read2_b32 v[4:5], v1 offset0:90 offset1:91
	ds_read2_b32 v[6:7], v1 offset0:92 offset1:93
	ds_read2_b32 v[8:9], v1 offset1:1
	ds_read2_b32 v[10:11], v1 offset0:2 offset1:3
	ds_read2_b32 v[12:13], v1 offset0:4 offset1:5
	ds_read2_b32 v[14:15], v1 offset0:6 offset1:7
	ds_read2_b32 v[16:17], v1 offset0:8 offset1:9
	s_waitcnt lgkmcnt(4)
	v_add_u32_e32 v3, v9, v3
	v_add_u32_e32 v2, v8, v2
	ds_write2_b32 v1, v2, v3 offset1:1
	s_waitcnt lgkmcnt(4)
	v_add_u32_e32 v2, v11, v5
	v_add_u32_e32 v3, v10, v4
	ds_write2_b32 v1, v3, v2 offset0:2 offset1:3
	ds_read2_b32 v[2:3], v1 offset0:94 offset1:95
	s_waitcnt lgkmcnt(5)
	v_add_u32_e32 v4, v13, v7
	v_add_u32_e32 v5, v12, v6
	ds_write2_b32 v1, v5, v4 offset0:4 offset1:5
	ds_read2_b32 v[4:5], v1 offset0:96 offset1:97
	s_waitcnt lgkmcnt(2)
	v_add_u32_e32 v6, v15, v3
	v_add_u32_e32 v7, v14, v2
	ds_read2_b32 v[2:3], v1 offset0:10 offset1:98
	ds_write2_b32 v1, v7, v6 offset0:6 offset1:7
	s_waitcnt lgkmcnt(2)
	v_add_u32_e32 v5, v17, v5
	v_add_u32_e32 v4, v16, v4
	ds_write2_b32 v1, v4, v5 offset0:8 offset1:9
	s_waitcnt lgkmcnt(2)
	v_add_u32_e32 v2, v2, v3
	ds_write_b32 v1, v2 offset:40
.LBB30_31:
	;; [unrolled: 42-line block ×4, first 2 shown]
	s_or_b64 exec, exec, s[2:3]
	v_cmp_eq_u32_e32 vcc, 0, v0
	s_waitcnt lgkmcnt(0)
	s_barrier
	s_and_saveexec_b64 s[2:3], vcc
	s_cbranch_execz .LBB30_37
; %bb.36:
	v_mov_b32_e32 v1, 0
	ds_read2_b32 v[14:15], v1 offset0:11 offset1:12
	ds_read_b128 v[2:5], v1
	ds_read_b128 v[6:9], v1 offset:16
	ds_read_b96 v[10:12], v1 offset:32
	ds_read2_b32 v[16:17], v1 offset0:13 offset1:14
	s_waitcnt lgkmcnt(3)
	v_add_u32_e32 v3, v3, v15
	v_add_u32_e32 v2, v2, v14
	ds_read2_b32 v[14:15], v1 offset0:15 offset1:16
	ds_read2_b32 v[18:19], v1 offset0:17 offset1:18
	;; [unrolled: 1-line block ×3, first 2 shown]
	s_waitcnt lgkmcnt(3)
	v_add_u32_e32 v5, v5, v17
	v_add_u32_e32 v4, v4, v16
	ds_write_b128 v1, v[2:5]
	s_waitcnt lgkmcnt(3)
	v_add_u32_e32 v2, v6, v14
	ds_read_b32 v6, v1 offset:84
	v_add_u32_e32 v3, v7, v15
	s_waitcnt lgkmcnt(3)
	v_add_u32_e32 v5, v9, v19
	v_add_u32_e32 v4, v8, v18
	ds_write_b128 v1, v[2:5] offset:16
	s_waitcnt lgkmcnt(3)
	v_add_u32_e32 v3, v11, v21
	v_add_u32_e32 v2, v10, v20
	s_waitcnt lgkmcnt(1)
	v_add_u32_e32 v4, v12, v6
	ds_write_b96 v1, v[2:4] offset:32
.LBB30_37:
	s_or_b64 exec, exec, s[2:3]
	v_cmp_gt_u32_e32 vcc, 11, v0
	s_waitcnt lgkmcnt(0)
	s_barrier
	s_and_saveexec_b64 s[2:3], vcc
	s_cbranch_execz .LBB30_39
; %bb.38:
	v_mad_u64_u32 v[2:3], s[2:3], s6, 11, v[0:1]
	v_lshlrev_b32_e32 v0, 2, v0
	ds_read_b32 v4, v0
	v_mov_b32_e32 v3, 0
	v_lshlrev_b64 v[2:3], 2, v[2:3]
	v_mov_b32_e32 v1, s1
	v_add_co_u32_e32 v0, vcc, s0, v2
	v_addc_co_u32_e32 v1, vcc, v1, v3, vcc
	s_waitcnt lgkmcnt(0)
	global_store_dword v[0:1], v4, off
.LBB30_39:
	s_endpgm
	.section	.rodata,"a",@progbits
	.p2align	6, 0x0
	.amdhsa_kernel _ZN9rocsparseL26csrgemm_group_reduce_part1ILj256ELj11EliEEvT2_PT1_PS1_j
		.amdhsa_group_segment_fixed_size 11264
		.amdhsa_private_segment_fixed_size 0
		.amdhsa_kernarg_size 288
		.amdhsa_user_sgpr_count 6
		.amdhsa_user_sgpr_private_segment_buffer 1
		.amdhsa_user_sgpr_dispatch_ptr 0
		.amdhsa_user_sgpr_queue_ptr 0
		.amdhsa_user_sgpr_kernarg_segment_ptr 1
		.amdhsa_user_sgpr_dispatch_id 0
		.amdhsa_user_sgpr_flat_scratch_init 0
		.amdhsa_user_sgpr_kernarg_preload_length 0
		.amdhsa_user_sgpr_kernarg_preload_offset 0
		.amdhsa_user_sgpr_private_segment_size 0
		.amdhsa_uses_dynamic_stack 0
		.amdhsa_system_sgpr_private_segment_wavefront_offset 0
		.amdhsa_system_sgpr_workgroup_id_x 1
		.amdhsa_system_sgpr_workgroup_id_y 0
		.amdhsa_system_sgpr_workgroup_id_z 0
		.amdhsa_system_sgpr_workgroup_info 0
		.amdhsa_system_vgpr_workitem_id 0
		.amdhsa_next_free_vgpr 23
		.amdhsa_next_free_sgpr 54
		.amdhsa_accum_offset 24
		.amdhsa_reserve_vcc 1
		.amdhsa_reserve_flat_scratch 0
		.amdhsa_float_round_mode_32 0
		.amdhsa_float_round_mode_16_64 0
		.amdhsa_float_denorm_mode_32 3
		.amdhsa_float_denorm_mode_16_64 3
		.amdhsa_dx10_clamp 1
		.amdhsa_ieee_mode 1
		.amdhsa_fp16_overflow 0
		.amdhsa_tg_split 0
		.amdhsa_exception_fp_ieee_invalid_op 0
		.amdhsa_exception_fp_denorm_src 0
		.amdhsa_exception_fp_ieee_div_zero 0
		.amdhsa_exception_fp_ieee_overflow 0
		.amdhsa_exception_fp_ieee_underflow 0
		.amdhsa_exception_fp_ieee_inexact 0
		.amdhsa_exception_int_div_zero 0
	.end_amdhsa_kernel
	.section	.text._ZN9rocsparseL26csrgemm_group_reduce_part1ILj256ELj11EliEEvT2_PT1_PS1_j,"axG",@progbits,_ZN9rocsparseL26csrgemm_group_reduce_part1ILj256ELj11EliEEvT2_PT1_PS1_j,comdat
.Lfunc_end30:
	.size	_ZN9rocsparseL26csrgemm_group_reduce_part1ILj256ELj11EliEEvT2_PT1_PS1_j, .Lfunc_end30-_ZN9rocsparseL26csrgemm_group_reduce_part1ILj256ELj11EliEEvT2_PT1_PS1_j
                                        ; -- End function
	.section	.AMDGPU.csdata,"",@progbits
; Kernel info:
; codeLenInByte = 2684
; NumSgprs: 58
; NumVgprs: 23
; NumAgprs: 0
; TotalNumVgprs: 23
; ScratchSize: 0
; MemoryBound: 0
; FloatMode: 240
; IeeeMode: 1
; LDSByteSize: 11264 bytes/workgroup (compile time only)
; SGPRBlocks: 7
; VGPRBlocks: 2
; NumSGPRsForWavesPerEU: 58
; NumVGPRsForWavesPerEU: 23
; AccumOffset: 24
; Occupancy: 5
; WaveLimiterHint : 0
; COMPUTE_PGM_RSRC2:SCRATCH_EN: 0
; COMPUTE_PGM_RSRC2:USER_SGPR: 6
; COMPUTE_PGM_RSRC2:TRAP_HANDLER: 0
; COMPUTE_PGM_RSRC2:TGID_X_EN: 1
; COMPUTE_PGM_RSRC2:TGID_Y_EN: 0
; COMPUTE_PGM_RSRC2:TGID_Z_EN: 0
; COMPUTE_PGM_RSRC2:TIDIG_COMP_CNT: 0
; COMPUTE_PGM_RSRC3_GFX90A:ACCUM_OFFSET: 5
; COMPUTE_PGM_RSRC3_GFX90A:TG_SPLIT: 0
	.section	.text._ZN9rocsparseL22csrgemm_nnz_wf_per_rowILj128ELj4ELj32ELj79EliEEvT4_PKS1_S3_PKT3_S3_S6_S3_S6_S3_PS4_21rocsparse_index_base_S8_S8_bb,"axG",@progbits,_ZN9rocsparseL22csrgemm_nnz_wf_per_rowILj128ELj4ELj32ELj79EliEEvT4_PKS1_S3_PKT3_S3_S6_S3_S6_S3_PS4_21rocsparse_index_base_S8_S8_bb,comdat
	.globl	_ZN9rocsparseL22csrgemm_nnz_wf_per_rowILj128ELj4ELj32ELj79EliEEvT4_PKS1_S3_PKT3_S3_S6_S3_S6_S3_PS4_21rocsparse_index_base_S8_S8_bb ; -- Begin function _ZN9rocsparseL22csrgemm_nnz_wf_per_rowILj128ELj4ELj32ELj79EliEEvT4_PKS1_S3_PKT3_S3_S6_S3_S6_S3_PS4_21rocsparse_index_base_S8_S8_bb
	.p2align	8
	.type	_ZN9rocsparseL22csrgemm_nnz_wf_per_rowILj128ELj4ELj32ELj79EliEEvT4_PKS1_S3_PKT3_S3_S6_S3_S6_S3_PS4_21rocsparse_index_base_S8_S8_bb,@function
_ZN9rocsparseL22csrgemm_nnz_wf_per_rowILj128ELj4ELj32ELj79EliEEvT4_PKS1_S3_PKT3_S3_S6_S3_S6_S3_PS4_21rocsparse_index_base_S8_S8_bb: ; @_ZN9rocsparseL22csrgemm_nnz_wf_per_rowILj128ELj4ELj32ELj79EliEEvT4_PKS1_S3_PKT3_S3_S6_S3_S6_S3_PS4_21rocsparse_index_base_S8_S8_bb
; %bb.0:
	s_load_dword s0, s[4:5], 0x0
	s_lshl_b32 s1, s6, 5
	v_and_b32_e32 v10, 3, v0
	v_lshrrev_b32_e32 v0, 2, v0
	s_and_b32 s1, s1, 0x3fffffe0
	v_lshlrev_b32_e32 v11, 7, v0
	v_or_b32_e32 v4, s1, v0
	v_lshl_or_b32 v1, v10, 2, v11
	v_mov_b32_e32 v2, -1
	s_waitcnt lgkmcnt(0)
	v_cmp_gt_i32_e32 vcc, s0, v4
	ds_write2_b32 v1, v2, v2 offset1:4
	ds_write2_b32 v1, v2, v2 offset0:8 offset1:12
	ds_write2_b32 v1, v2, v2 offset0:16 offset1:20
	;; [unrolled: 1-line block ×3, first 2 shown]
	s_waitcnt lgkmcnt(0)
	s_and_saveexec_b64 s[0:1], vcc
	s_cbranch_execz .LBB31_37
; %bb.1:
	s_load_dwordx2 s[0:1], s[4:5], 0x10
	s_waitcnt lgkmcnt(0)
	s_cmp_eq_u64 s[0:1], 0
	s_cbranch_scc1 .LBB31_3
; %bb.2:
	s_load_dwordx2 s[2:3], s[4:5], 0x8
	v_mov_b32_e32 v2, s1
	s_waitcnt lgkmcnt(0)
	s_load_dword s2, s[2:3], 0x0
	s_waitcnt lgkmcnt(0)
	v_add_u32_e32 v0, s2, v4
	v_ashrrev_i32_e32 v1, 31, v0
	v_lshlrev_b64 v[0:1], 2, v[0:1]
	v_add_co_u32_e32 v0, vcc, s0, v0
	v_addc_co_u32_e32 v1, vcc, v2, v1, vcc
	global_load_dword v4, v[0:1], off
.LBB31_3:
	s_load_dwordx4 s[8:11], s[4:5], 0x50
	v_mov_b32_e32 v12, 0
	s_waitcnt vmcnt(0)
	v_ashrrev_i32_e32 v5, 31, v4
	s_waitcnt lgkmcnt(0)
	s_bitcmp0_b32 s11, 0
	s_cbranch_scc1 .LBB31_21
; %bb.4:
	s_load_dwordx2 s[0:1], s[4:5], 0x18
	v_lshlrev_b64 v[0:1], 3, v[4:5]
	v_mov_b32_e32 v12, 0
	s_waitcnt lgkmcnt(0)
	v_mov_b32_e32 v2, s1
	v_add_co_u32_e32 v0, vcc, s0, v0
	v_addc_co_u32_e32 v1, vcc, v2, v1, vcc
	global_load_dwordx4 v[0:3], v[0:1], off
	v_subrev_co_u32_e32 v8, vcc, s8, v10
	v_subb_co_u32_e64 v9, s[0:1], 0, 0, vcc
	s_waitcnt vmcnt(0)
	v_subrev_co_u32_e32 v6, vcc, s8, v2
	v_subbrev_co_u32_e32 v7, vcc, 0, v3, vcc
	v_add_co_u32_e32 v8, vcc, v8, v0
	v_addc_co_u32_e32 v9, vcc, v9, v1, vcc
	v_cmp_lt_i64_e32 vcc, v[8:9], v[6:7]
	s_and_saveexec_b64 s[2:3], vcc
	s_cbranch_execz .LBB31_20
; %bb.5:
	s_load_dwordx4 s[12:15], s[4:5], 0x20
	s_load_dwordx2 s[6:7], s[4:5], 0x30
	s_mov_b32 s11, 0
	s_mov_b32 s33, s9
	s_mov_b64 s[16:17], 0
	v_mov_b32_e32 v12, 0
	s_waitcnt lgkmcnt(0)
	v_mov_b32_e32 v13, s13
	v_mov_b32_e32 v14, s15
	v_mov_b32_e32 v15, -1
	s_branch .LBB31_8
.LBB31_6:                               ;   in Loop: Header=BB31_8 Depth=1
	s_or_b64 exec, exec, s[20:21]
.LBB31_7:                               ;   in Loop: Header=BB31_8 Depth=1
	s_or_b64 exec, exec, s[18:19]
	v_add_co_u32_e32 v8, vcc, 4, v8
	v_addc_co_u32_e32 v9, vcc, 0, v9, vcc
	v_cmp_ge_i64_e32 vcc, v[8:9], v[6:7]
	s_or_b64 s[16:17], vcc, s[16:17]
	s_andn2_b64 exec, exec, s[16:17]
	s_cbranch_execz .LBB31_19
.LBB31_8:                               ; =>This Loop Header: Depth=1
                                        ;     Child Loop BB31_11 Depth 2
                                        ;       Child Loop BB31_14 Depth 3
	v_lshlrev_b64 v[0:1], 2, v[8:9]
	v_add_co_u32_e32 v0, vcc, s12, v0
	v_addc_co_u32_e32 v1, vcc, v13, v1, vcc
	global_load_dword v0, v[0:1], off
	s_waitcnt vmcnt(0)
	v_subrev_u32_e32 v0, s8, v0
	v_ashrrev_i32_e32 v1, 31, v0
	v_lshlrev_b64 v[0:1], 3, v[0:1]
	v_add_co_u32_e32 v0, vcc, s14, v0
	v_addc_co_u32_e32 v1, vcc, v14, v1, vcc
	global_load_dwordx4 v[0:3], v[0:1], off
	s_waitcnt vmcnt(0)
	v_cmp_lt_i64_e32 vcc, v[0:1], v[2:3]
	s_and_saveexec_b64 s[18:19], vcc
	s_cbranch_execz .LBB31_7
; %bb.9:                                ;   in Loop: Header=BB31_8 Depth=1
	v_mov_b32_e32 v16, s11
	v_subrev_co_u32_e32 v2, vcc, s33, v2
	v_subb_co_u32_e32 v3, vcc, v3, v16, vcc
	v_subrev_co_u32_e32 v0, vcc, s33, v0
	v_subb_co_u32_e32 v1, vcc, v1, v16, vcc
	s_mov_b64 s[20:21], 0
	s_branch .LBB31_11
.LBB31_10:                              ;   in Loop: Header=BB31_11 Depth=2
	s_or_b64 exec, exec, s[28:29]
	v_add_co_u32_e32 v0, vcc, 1, v0
	v_addc_co_u32_e32 v1, vcc, 0, v1, vcc
	v_cndmask_b32_e64 v16, 0, 1, s[22:23]
	v_cmp_ge_i64_e32 vcc, v[0:1], v[2:3]
	s_or_b64 s[20:21], vcc, s[20:21]
	v_add_u32_e32 v12, v12, v16
	s_andn2_b64 exec, exec, s[20:21]
	s_cbranch_execz .LBB31_6
.LBB31_11:                              ;   Parent Loop BB31_8 Depth=1
                                        ; =>  This Loop Header: Depth=2
                                        ;       Child Loop BB31_14 Depth 3
	v_lshlrev_b64 v[16:17], 2, v[0:1]
	v_mov_b32_e32 v18, s7
	v_add_co_u32_e32 v16, vcc, s6, v16
	v_addc_co_u32_e32 v17, vcc, v18, v17, vcc
	global_load_dword v16, v[16:17], off
	s_mov_b64 s[28:29], 0
                                        ; implicit-def: $sgpr22_sgpr23
                                        ; implicit-def: $sgpr24_sgpr25
                                        ; implicit-def: $sgpr26_sgpr27
                                        ; implicit-def: $sgpr30_sgpr31
	s_waitcnt vmcnt(0)
	v_subrev_u32_e32 v16, s9, v16
	v_mul_lo_u32 v17, v16, 15
	v_and_b32_e32 v17, 31, v17
	s_branch .LBB31_14
.LBB31_12:                              ;   in Loop: Header=BB31_14 Depth=3
	s_or_b64 exec, exec, s[38:39]
	s_andn2_b64 s[26:27], s[26:27], exec
	s_and_b64 s[30:31], s[36:37], exec
	s_andn2_b64 s[24:25], s[24:25], exec
	s_and_b64 s[0:1], s[0:1], exec
	s_or_b64 s[26:27], s[26:27], s[30:31]
	s_or_b64 s[24:25], s[24:25], s[0:1]
                                        ; implicit-def: $sgpr30_sgpr31
.LBB31_13:                              ;   in Loop: Header=BB31_14 Depth=3
	s_or_b64 exec, exec, s[34:35]
	s_xor_b64 s[0:1], s[24:25], -1
	s_and_b64 s[0:1], exec, s[0:1]
	s_or_b64 s[28:29], s[0:1], s[28:29]
	s_andn2_b64 s[0:1], s[30:31], exec
	s_and_b64 s[34:35], s[26:27], exec
	s_or_b64 s[30:31], s[0:1], s[34:35]
	s_andn2_b64 s[0:1], s[22:23], exec
	s_or_b64 s[22:23], s[0:1], s[34:35]
	s_andn2_b64 exec, exec, s[28:29]
	s_cbranch_execz .LBB31_10
.LBB31_14:                              ;   Parent Loop BB31_8 Depth=1
                                        ;     Parent Loop BB31_11 Depth=2
                                        ; =>    This Inner Loop Header: Depth=3
	v_lshl_add_u32 v18, v17, 2, v11
	ds_read_b32 v19, v18
	s_andn2_b64 s[26:27], s[26:27], exec
	s_andn2_b64 s[24:25], s[24:25], exec
	s_waitcnt lgkmcnt(0)
	v_cmp_ne_u32_e32 vcc, v19, v16
	s_and_saveexec_b64 s[34:35], vcc
	s_cbranch_execz .LBB31_13
; %bb.15:                               ;   in Loop: Header=BB31_14 Depth=3
	v_cmp_ne_u32_e32 vcc, -1, v19
                                        ; implicit-def: $sgpr36_sgpr37
                                        ; implicit-def: $sgpr0_sgpr1
	s_and_saveexec_b64 s[38:39], vcc
	s_xor_b64 s[38:39], exec, s[38:39]
; %bb.16:                               ;   in Loop: Header=BB31_14 Depth=3
	v_add_u32_e32 v17, 1, v17
	v_and_b32_e32 v17, 31, v17
	s_mov_b64 s[0:1], -1
	s_and_b64 s[36:37], s[30:31], exec
                                        ; implicit-def: $vgpr18
; %bb.17:                               ;   in Loop: Header=BB31_14 Depth=3
	s_andn2_saveexec_b64 s[38:39], s[38:39]
	s_cbranch_execz .LBB31_12
; %bb.18:                               ;   in Loop: Header=BB31_14 Depth=3
	ds_cmpst_rtn_b32 v18, v18, v15, v16
	s_andn2_b64 s[40:41], s[0:1], exec
	s_andn2_b64 s[36:37], s[36:37], exec
	s_waitcnt lgkmcnt(0)
	v_cmp_eq_u32_e64 s[0:1], -1, v18
	v_cmp_ne_u32_e32 vcc, -1, v18
	s_or_b64 s[30:31], s[0:1], s[30:31]
	s_and_b64 s[0:1], vcc, exec
	s_and_b64 s[30:31], s[30:31], exec
	s_or_b64 s[0:1], s[40:41], s[0:1]
	s_or_b64 s[36:37], s[36:37], s[30:31]
	s_branch .LBB31_12
.LBB31_19:
	s_or_b64 exec, exec, s[16:17]
.LBB31_20:
	s_or_b64 exec, exec, s[2:3]
.LBB31_21:
	s_load_dword s0, s[4:5], 0x5c
	s_waitcnt lgkmcnt(0)
	s_bfe_u32 s0, s0, 0x10008
	s_cmp_eq_u32 s0, 0
	s_cbranch_scc1 .LBB31_35
; %bb.22:
	s_load_dwordx2 s[0:1], s[4:5], 0x38
	v_lshlrev_b64 v[0:1], 3, v[4:5]
	s_waitcnt lgkmcnt(0)
	v_mov_b32_e32 v2, s1
	v_add_co_u32_e32 v0, vcc, s0, v0
	v_addc_co_u32_e32 v1, vcc, v2, v1, vcc
	global_load_dwordx4 v[6:9], v[0:1], off
	v_subrev_co_u32_e32 v2, vcc, s10, v10
	v_subb_co_u32_e64 v3, s[0:1], 0, 0, vcc
	s_waitcnt vmcnt(0)
	v_subrev_co_u32_e32 v0, vcc, s10, v8
	v_subbrev_co_u32_e32 v1, vcc, 0, v9, vcc
	v_add_co_u32_e32 v2, vcc, v2, v6
	v_addc_co_u32_e32 v3, vcc, v3, v7, vcc
	v_cmp_lt_i64_e32 vcc, v[2:3], v[0:1]
	s_and_saveexec_b64 s[2:3], vcc
	s_cbranch_execz .LBB31_34
; %bb.23:
	s_load_dwordx2 s[6:7], s[4:5], 0x40
	s_mov_b64 s[8:9], 0
	v_mov_b32_e32 v7, -1
	s_waitcnt lgkmcnt(0)
	v_mov_b32_e32 v6, s7
	s_branch .LBB31_25
.LBB31_24:                              ;   in Loop: Header=BB31_25 Depth=1
	s_or_b64 exec, exec, s[18:19]
	v_add_co_u32_e32 v2, vcc, 4, v2
	v_addc_co_u32_e32 v3, vcc, 0, v3, vcc
	v_cndmask_b32_e64 v8, 0, 1, s[12:13]
	v_cmp_ge_i64_e32 vcc, v[2:3], v[0:1]
	s_or_b64 s[8:9], vcc, s[8:9]
	v_add_u32_e32 v12, v12, v8
	s_andn2_b64 exec, exec, s[8:9]
	s_cbranch_execz .LBB31_33
.LBB31_25:                              ; =>This Loop Header: Depth=1
                                        ;     Child Loop BB31_28 Depth 2
	v_lshlrev_b64 v[8:9], 2, v[2:3]
	v_add_co_u32_e32 v8, vcc, s6, v8
	v_addc_co_u32_e32 v9, vcc, v6, v9, vcc
	global_load_dword v8, v[8:9], off
	s_mov_b64 s[18:19], 0
                                        ; implicit-def: $sgpr12_sgpr13
                                        ; implicit-def: $sgpr14_sgpr15
                                        ; implicit-def: $sgpr16_sgpr17
                                        ; implicit-def: $sgpr20_sgpr21
	s_waitcnt vmcnt(0)
	v_subrev_u32_e32 v8, s10, v8
	v_mul_lo_u32 v9, v8, 15
	v_and_b32_e32 v9, 31, v9
	s_branch .LBB31_28
.LBB31_26:                              ;   in Loop: Header=BB31_28 Depth=2
	s_or_b64 exec, exec, s[26:27]
	s_andn2_b64 s[16:17], s[16:17], exec
	s_and_b64 s[20:21], s[24:25], exec
	s_andn2_b64 s[14:15], s[14:15], exec
	s_and_b64 s[0:1], s[0:1], exec
	s_or_b64 s[16:17], s[16:17], s[20:21]
	s_or_b64 s[14:15], s[14:15], s[0:1]
                                        ; implicit-def: $sgpr20_sgpr21
.LBB31_27:                              ;   in Loop: Header=BB31_28 Depth=2
	s_or_b64 exec, exec, s[22:23]
	s_xor_b64 s[0:1], s[14:15], -1
	s_and_b64 s[0:1], exec, s[0:1]
	s_or_b64 s[18:19], s[0:1], s[18:19]
	s_andn2_b64 s[0:1], s[20:21], exec
	s_and_b64 s[22:23], s[16:17], exec
	s_or_b64 s[20:21], s[0:1], s[22:23]
	s_andn2_b64 s[0:1], s[12:13], exec
	s_or_b64 s[12:13], s[0:1], s[22:23]
	s_andn2_b64 exec, exec, s[18:19]
	s_cbranch_execz .LBB31_24
.LBB31_28:                              ;   Parent Loop BB31_25 Depth=1
                                        ; =>  This Inner Loop Header: Depth=2
	v_lshl_add_u32 v13, v9, 2, v11
	ds_read_b32 v14, v13
	s_andn2_b64 s[16:17], s[16:17], exec
	s_andn2_b64 s[14:15], s[14:15], exec
	s_waitcnt lgkmcnt(0)
	v_cmp_ne_u32_e32 vcc, v14, v8
	s_and_saveexec_b64 s[22:23], vcc
	s_cbranch_execz .LBB31_27
; %bb.29:                               ;   in Loop: Header=BB31_28 Depth=2
	v_cmp_ne_u32_e32 vcc, -1, v14
                                        ; implicit-def: $sgpr24_sgpr25
                                        ; implicit-def: $sgpr0_sgpr1
	s_and_saveexec_b64 s[26:27], vcc
	s_xor_b64 s[26:27], exec, s[26:27]
; %bb.30:                               ;   in Loop: Header=BB31_28 Depth=2
	v_add_u32_e32 v9, 1, v9
	v_and_b32_e32 v9, 31, v9
	s_mov_b64 s[0:1], -1
	s_and_b64 s[24:25], s[20:21], exec
                                        ; implicit-def: $vgpr13
; %bb.31:                               ;   in Loop: Header=BB31_28 Depth=2
	s_andn2_saveexec_b64 s[26:27], s[26:27]
	s_cbranch_execz .LBB31_26
; %bb.32:                               ;   in Loop: Header=BB31_28 Depth=2
	ds_cmpst_rtn_b32 v13, v13, v7, v8
	s_andn2_b64 s[28:29], s[0:1], exec
	s_andn2_b64 s[24:25], s[24:25], exec
	s_waitcnt lgkmcnt(0)
	v_cmp_eq_u32_e64 s[0:1], -1, v13
	v_cmp_ne_u32_e32 vcc, -1, v13
	s_or_b64 s[20:21], s[0:1], s[20:21]
	s_and_b64 s[0:1], vcc, exec
	s_and_b64 s[20:21], s[20:21], exec
	s_or_b64 s[0:1], s[28:29], s[0:1]
	s_or_b64 s[24:25], s[24:25], s[20:21]
	s_branch .LBB31_26
.LBB31_33:
	s_or_b64 exec, exec, s[8:9]
.LBB31_34:
	s_or_b64 exec, exec, s[2:3]
.LBB31_35:
	v_mov_b32_dpp v0, v12 row_shr:1 row_mask:0xf bank_mask:0xf
	v_add_u32_e32 v0, v0, v12
	v_cmp_eq_u32_e32 vcc, 3, v10
	s_nop 0
	v_mov_b32_dpp v1, v0 row_shr:2 row_mask:0xf bank_mask:0xf
	s_and_b64 exec, exec, vcc
	s_cbranch_execz .LBB31_37
; %bb.36:
	s_load_dwordx2 s[0:1], s[4:5], 0x48
	v_lshlrev_b64 v[2:3], 3, v[4:5]
	v_add_u32_e32 v0, v0, v1
	v_ashrrev_i32_e32 v1, 31, v0
	s_waitcnt lgkmcnt(0)
	v_mov_b32_e32 v4, s1
	v_add_co_u32_e32 v2, vcc, s0, v2
	v_addc_co_u32_e32 v3, vcc, v4, v3, vcc
	global_store_dwordx2 v[2:3], v[0:1], off
.LBB31_37:
	s_endpgm
	.section	.rodata,"a",@progbits
	.p2align	6, 0x0
	.amdhsa_kernel _ZN9rocsparseL22csrgemm_nnz_wf_per_rowILj128ELj4ELj32ELj79EliEEvT4_PKS1_S3_PKT3_S3_S6_S3_S6_S3_PS4_21rocsparse_index_base_S8_S8_bb
		.amdhsa_group_segment_fixed_size 4096
		.amdhsa_private_segment_fixed_size 0
		.amdhsa_kernarg_size 96
		.amdhsa_user_sgpr_count 6
		.amdhsa_user_sgpr_private_segment_buffer 1
		.amdhsa_user_sgpr_dispatch_ptr 0
		.amdhsa_user_sgpr_queue_ptr 0
		.amdhsa_user_sgpr_kernarg_segment_ptr 1
		.amdhsa_user_sgpr_dispatch_id 0
		.amdhsa_user_sgpr_flat_scratch_init 0
		.amdhsa_user_sgpr_kernarg_preload_length 0
		.amdhsa_user_sgpr_kernarg_preload_offset 0
		.amdhsa_user_sgpr_private_segment_size 0
		.amdhsa_uses_dynamic_stack 0
		.amdhsa_system_sgpr_private_segment_wavefront_offset 0
		.amdhsa_system_sgpr_workgroup_id_x 1
		.amdhsa_system_sgpr_workgroup_id_y 0
		.amdhsa_system_sgpr_workgroup_id_z 0
		.amdhsa_system_sgpr_workgroup_info 0
		.amdhsa_system_vgpr_workitem_id 0
		.amdhsa_next_free_vgpr 20
		.amdhsa_next_free_sgpr 42
		.amdhsa_accum_offset 20
		.amdhsa_reserve_vcc 1
		.amdhsa_reserve_flat_scratch 0
		.amdhsa_float_round_mode_32 0
		.amdhsa_float_round_mode_16_64 0
		.amdhsa_float_denorm_mode_32 3
		.amdhsa_float_denorm_mode_16_64 3
		.amdhsa_dx10_clamp 1
		.amdhsa_ieee_mode 1
		.amdhsa_fp16_overflow 0
		.amdhsa_tg_split 0
		.amdhsa_exception_fp_ieee_invalid_op 0
		.amdhsa_exception_fp_denorm_src 0
		.amdhsa_exception_fp_ieee_div_zero 0
		.amdhsa_exception_fp_ieee_overflow 0
		.amdhsa_exception_fp_ieee_underflow 0
		.amdhsa_exception_fp_ieee_inexact 0
		.amdhsa_exception_int_div_zero 0
	.end_amdhsa_kernel
	.section	.text._ZN9rocsparseL22csrgemm_nnz_wf_per_rowILj128ELj4ELj32ELj79EliEEvT4_PKS1_S3_PKT3_S3_S6_S3_S6_S3_PS4_21rocsparse_index_base_S8_S8_bb,"axG",@progbits,_ZN9rocsparseL22csrgemm_nnz_wf_per_rowILj128ELj4ELj32ELj79EliEEvT4_PKS1_S3_PKT3_S3_S6_S3_S6_S3_PS4_21rocsparse_index_base_S8_S8_bb,comdat
.Lfunc_end31:
	.size	_ZN9rocsparseL22csrgemm_nnz_wf_per_rowILj128ELj4ELj32ELj79EliEEvT4_PKS1_S3_PKT3_S3_S6_S3_S6_S3_PS4_21rocsparse_index_base_S8_S8_bb, .Lfunc_end31-_ZN9rocsparseL22csrgemm_nnz_wf_per_rowILj128ELj4ELj32ELj79EliEEvT4_PKS1_S3_PKT3_S3_S6_S3_S6_S3_PS4_21rocsparse_index_base_S8_S8_bb
                                        ; -- End function
	.section	.AMDGPU.csdata,"",@progbits
; Kernel info:
; codeLenInByte = 1328
; NumSgprs: 46
; NumVgprs: 20
; NumAgprs: 0
; TotalNumVgprs: 20
; ScratchSize: 0
; MemoryBound: 0
; FloatMode: 240
; IeeeMode: 1
; LDSByteSize: 4096 bytes/workgroup (compile time only)
; SGPRBlocks: 5
; VGPRBlocks: 2
; NumSGPRsForWavesPerEU: 46
; NumVGPRsForWavesPerEU: 20
; AccumOffset: 20
; Occupancy: 8
; WaveLimiterHint : 1
; COMPUTE_PGM_RSRC2:SCRATCH_EN: 0
; COMPUTE_PGM_RSRC2:USER_SGPR: 6
; COMPUTE_PGM_RSRC2:TRAP_HANDLER: 0
; COMPUTE_PGM_RSRC2:TGID_X_EN: 1
; COMPUTE_PGM_RSRC2:TGID_Y_EN: 0
; COMPUTE_PGM_RSRC2:TGID_Z_EN: 0
; COMPUTE_PGM_RSRC2:TIDIG_COMP_CNT: 0
; COMPUTE_PGM_RSRC3_GFX90A:ACCUM_OFFSET: 4
; COMPUTE_PGM_RSRC3_GFX90A:TG_SPLIT: 0
	.section	.text._ZN9rocsparseL22csrgemm_nnz_wf_per_rowILj256ELj8ELj64ELj79EliEEvT4_PKS1_S3_PKT3_S3_S6_S3_S6_S3_PS4_21rocsparse_index_base_S8_S8_bb,"axG",@progbits,_ZN9rocsparseL22csrgemm_nnz_wf_per_rowILj256ELj8ELj64ELj79EliEEvT4_PKS1_S3_PKT3_S3_S6_S3_S6_S3_PS4_21rocsparse_index_base_S8_S8_bb,comdat
	.globl	_ZN9rocsparseL22csrgemm_nnz_wf_per_rowILj256ELj8ELj64ELj79EliEEvT4_PKS1_S3_PKT3_S3_S6_S3_S6_S3_PS4_21rocsparse_index_base_S8_S8_bb ; -- Begin function _ZN9rocsparseL22csrgemm_nnz_wf_per_rowILj256ELj8ELj64ELj79EliEEvT4_PKS1_S3_PKT3_S3_S6_S3_S6_S3_PS4_21rocsparse_index_base_S8_S8_bb
	.p2align	8
	.type	_ZN9rocsparseL22csrgemm_nnz_wf_per_rowILj256ELj8ELj64ELj79EliEEvT4_PKS1_S3_PKT3_S3_S6_S3_S6_S3_PS4_21rocsparse_index_base_S8_S8_bb,@function
_ZN9rocsparseL22csrgemm_nnz_wf_per_rowILj256ELj8ELj64ELj79EliEEvT4_PKS1_S3_PKT3_S3_S6_S3_S6_S3_PS4_21rocsparse_index_base_S8_S8_bb: ; @_ZN9rocsparseL22csrgemm_nnz_wf_per_rowILj256ELj8ELj64ELj79EliEEvT4_PKS1_S3_PKT3_S3_S6_S3_S6_S3_PS4_21rocsparse_index_base_S8_S8_bb
; %bb.0:
	s_load_dword s0, s[4:5], 0x0
	s_lshl_b32 s1, s6, 5
	v_and_b32_e32 v10, 7, v0
	v_lshrrev_b32_e32 v0, 3, v0
	s_and_b32 s1, s1, 0x1fffffe0
	v_lshlrev_b32_e32 v11, 8, v0
	v_or_b32_e32 v4, s1, v0
	v_lshl_or_b32 v1, v10, 2, v11
	v_mov_b32_e32 v2, -1
	s_waitcnt lgkmcnt(0)
	v_cmp_gt_i32_e32 vcc, s0, v4
	ds_write2_b32 v1, v2, v2 offset1:8
	ds_write2_b32 v1, v2, v2 offset0:16 offset1:24
	ds_write2_b32 v1, v2, v2 offset0:32 offset1:40
	;; [unrolled: 1-line block ×3, first 2 shown]
	s_waitcnt lgkmcnt(0)
	s_and_saveexec_b64 s[0:1], vcc
	s_cbranch_execz .LBB32_37
; %bb.1:
	s_load_dwordx2 s[0:1], s[4:5], 0x10
	s_waitcnt lgkmcnt(0)
	s_cmp_eq_u64 s[0:1], 0
	s_cbranch_scc1 .LBB32_3
; %bb.2:
	s_load_dwordx2 s[2:3], s[4:5], 0x8
	v_mov_b32_e32 v2, s1
	s_waitcnt lgkmcnt(0)
	s_load_dword s2, s[2:3], 0x0
	s_waitcnt lgkmcnt(0)
	v_add_u32_e32 v0, s2, v4
	v_ashrrev_i32_e32 v1, 31, v0
	v_lshlrev_b64 v[0:1], 2, v[0:1]
	v_add_co_u32_e32 v0, vcc, s0, v0
	v_addc_co_u32_e32 v1, vcc, v2, v1, vcc
	global_load_dword v4, v[0:1], off
.LBB32_3:
	s_load_dwordx4 s[8:11], s[4:5], 0x50
	v_mov_b32_e32 v12, 0
	s_waitcnt vmcnt(0)
	v_ashrrev_i32_e32 v5, 31, v4
	s_waitcnt lgkmcnt(0)
	s_bitcmp0_b32 s11, 0
	s_cbranch_scc1 .LBB32_21
; %bb.4:
	s_load_dwordx2 s[0:1], s[4:5], 0x18
	v_lshlrev_b64 v[0:1], 3, v[4:5]
	v_mov_b32_e32 v12, 0
	s_waitcnt lgkmcnt(0)
	v_mov_b32_e32 v2, s1
	v_add_co_u32_e32 v0, vcc, s0, v0
	v_addc_co_u32_e32 v1, vcc, v2, v1, vcc
	global_load_dwordx4 v[0:3], v[0:1], off
	v_subrev_co_u32_e32 v8, vcc, s8, v10
	v_subb_co_u32_e64 v9, s[0:1], 0, 0, vcc
	s_waitcnt vmcnt(0)
	v_subrev_co_u32_e32 v6, vcc, s8, v2
	v_subbrev_co_u32_e32 v7, vcc, 0, v3, vcc
	v_add_co_u32_e32 v8, vcc, v8, v0
	v_addc_co_u32_e32 v9, vcc, v9, v1, vcc
	v_cmp_lt_i64_e32 vcc, v[8:9], v[6:7]
	s_and_saveexec_b64 s[2:3], vcc
	s_cbranch_execz .LBB32_20
; %bb.5:
	s_load_dwordx4 s[12:15], s[4:5], 0x20
	s_load_dwordx2 s[6:7], s[4:5], 0x30
	s_mov_b32 s11, 0
	s_mov_b32 s33, s9
	s_mov_b64 s[16:17], 0
	v_mov_b32_e32 v12, 0
	s_waitcnt lgkmcnt(0)
	v_mov_b32_e32 v13, s13
	v_mov_b32_e32 v14, s15
	v_mov_b32_e32 v15, -1
	s_branch .LBB32_8
.LBB32_6:                               ;   in Loop: Header=BB32_8 Depth=1
	s_or_b64 exec, exec, s[20:21]
.LBB32_7:                               ;   in Loop: Header=BB32_8 Depth=1
	s_or_b64 exec, exec, s[18:19]
	v_add_co_u32_e32 v8, vcc, 8, v8
	v_addc_co_u32_e32 v9, vcc, 0, v9, vcc
	v_cmp_ge_i64_e32 vcc, v[8:9], v[6:7]
	s_or_b64 s[16:17], vcc, s[16:17]
	s_andn2_b64 exec, exec, s[16:17]
	s_cbranch_execz .LBB32_19
.LBB32_8:                               ; =>This Loop Header: Depth=1
                                        ;     Child Loop BB32_11 Depth 2
                                        ;       Child Loop BB32_14 Depth 3
	v_lshlrev_b64 v[0:1], 2, v[8:9]
	v_add_co_u32_e32 v0, vcc, s12, v0
	v_addc_co_u32_e32 v1, vcc, v13, v1, vcc
	global_load_dword v0, v[0:1], off
	s_waitcnt vmcnt(0)
	v_subrev_u32_e32 v0, s8, v0
	v_ashrrev_i32_e32 v1, 31, v0
	v_lshlrev_b64 v[0:1], 3, v[0:1]
	v_add_co_u32_e32 v0, vcc, s14, v0
	v_addc_co_u32_e32 v1, vcc, v14, v1, vcc
	global_load_dwordx4 v[0:3], v[0:1], off
	s_waitcnt vmcnt(0)
	v_cmp_lt_i64_e32 vcc, v[0:1], v[2:3]
	s_and_saveexec_b64 s[18:19], vcc
	s_cbranch_execz .LBB32_7
; %bb.9:                                ;   in Loop: Header=BB32_8 Depth=1
	v_mov_b32_e32 v16, s11
	v_subrev_co_u32_e32 v2, vcc, s33, v2
	v_subb_co_u32_e32 v3, vcc, v3, v16, vcc
	v_subrev_co_u32_e32 v0, vcc, s33, v0
	v_subb_co_u32_e32 v1, vcc, v1, v16, vcc
	s_mov_b64 s[20:21], 0
	s_branch .LBB32_11
.LBB32_10:                              ;   in Loop: Header=BB32_11 Depth=2
	s_or_b64 exec, exec, s[28:29]
	v_add_co_u32_e32 v0, vcc, 1, v0
	v_addc_co_u32_e32 v1, vcc, 0, v1, vcc
	v_cndmask_b32_e64 v16, 0, 1, s[22:23]
	v_cmp_ge_i64_e32 vcc, v[0:1], v[2:3]
	s_or_b64 s[20:21], vcc, s[20:21]
	v_add_u32_e32 v12, v12, v16
	s_andn2_b64 exec, exec, s[20:21]
	s_cbranch_execz .LBB32_6
.LBB32_11:                              ;   Parent Loop BB32_8 Depth=1
                                        ; =>  This Loop Header: Depth=2
                                        ;       Child Loop BB32_14 Depth 3
	v_lshlrev_b64 v[16:17], 2, v[0:1]
	v_mov_b32_e32 v18, s7
	v_add_co_u32_e32 v16, vcc, s6, v16
	v_addc_co_u32_e32 v17, vcc, v18, v17, vcc
	global_load_dword v16, v[16:17], off
	s_mov_b64 s[28:29], 0
                                        ; implicit-def: $sgpr22_sgpr23
                                        ; implicit-def: $sgpr24_sgpr25
                                        ; implicit-def: $sgpr26_sgpr27
                                        ; implicit-def: $sgpr30_sgpr31
	s_waitcnt vmcnt(0)
	v_subrev_u32_e32 v16, s9, v16
	v_mul_lo_u32 v17, v16, 15
	v_and_b32_e32 v17, 63, v17
	s_branch .LBB32_14
.LBB32_12:                              ;   in Loop: Header=BB32_14 Depth=3
	s_or_b64 exec, exec, s[38:39]
	s_andn2_b64 s[26:27], s[26:27], exec
	s_and_b64 s[30:31], s[36:37], exec
	s_andn2_b64 s[24:25], s[24:25], exec
	s_and_b64 s[0:1], s[0:1], exec
	s_or_b64 s[26:27], s[26:27], s[30:31]
	s_or_b64 s[24:25], s[24:25], s[0:1]
                                        ; implicit-def: $sgpr30_sgpr31
.LBB32_13:                              ;   in Loop: Header=BB32_14 Depth=3
	s_or_b64 exec, exec, s[34:35]
	s_xor_b64 s[0:1], s[24:25], -1
	s_and_b64 s[0:1], exec, s[0:1]
	s_or_b64 s[28:29], s[0:1], s[28:29]
	s_andn2_b64 s[0:1], s[30:31], exec
	s_and_b64 s[34:35], s[26:27], exec
	s_or_b64 s[30:31], s[0:1], s[34:35]
	s_andn2_b64 s[0:1], s[22:23], exec
	s_or_b64 s[22:23], s[0:1], s[34:35]
	s_andn2_b64 exec, exec, s[28:29]
	s_cbranch_execz .LBB32_10
.LBB32_14:                              ;   Parent Loop BB32_8 Depth=1
                                        ;     Parent Loop BB32_11 Depth=2
                                        ; =>    This Inner Loop Header: Depth=3
	v_lshl_add_u32 v18, v17, 2, v11
	ds_read_b32 v19, v18
	s_andn2_b64 s[26:27], s[26:27], exec
	s_andn2_b64 s[24:25], s[24:25], exec
	s_waitcnt lgkmcnt(0)
	v_cmp_ne_u32_e32 vcc, v19, v16
	s_and_saveexec_b64 s[34:35], vcc
	s_cbranch_execz .LBB32_13
; %bb.15:                               ;   in Loop: Header=BB32_14 Depth=3
	v_cmp_ne_u32_e32 vcc, -1, v19
                                        ; implicit-def: $sgpr36_sgpr37
                                        ; implicit-def: $sgpr0_sgpr1
	s_and_saveexec_b64 s[38:39], vcc
	s_xor_b64 s[38:39], exec, s[38:39]
; %bb.16:                               ;   in Loop: Header=BB32_14 Depth=3
	v_add_u32_e32 v17, 1, v17
	v_and_b32_e32 v17, 63, v17
	s_mov_b64 s[0:1], -1
	s_and_b64 s[36:37], s[30:31], exec
                                        ; implicit-def: $vgpr18
; %bb.17:                               ;   in Loop: Header=BB32_14 Depth=3
	s_andn2_saveexec_b64 s[38:39], s[38:39]
	s_cbranch_execz .LBB32_12
; %bb.18:                               ;   in Loop: Header=BB32_14 Depth=3
	ds_cmpst_rtn_b32 v18, v18, v15, v16
	s_andn2_b64 s[40:41], s[0:1], exec
	s_andn2_b64 s[36:37], s[36:37], exec
	s_waitcnt lgkmcnt(0)
	v_cmp_eq_u32_e64 s[0:1], -1, v18
	v_cmp_ne_u32_e32 vcc, -1, v18
	s_or_b64 s[30:31], s[0:1], s[30:31]
	s_and_b64 s[0:1], vcc, exec
	s_and_b64 s[30:31], s[30:31], exec
	s_or_b64 s[0:1], s[40:41], s[0:1]
	s_or_b64 s[36:37], s[36:37], s[30:31]
	s_branch .LBB32_12
.LBB32_19:
	s_or_b64 exec, exec, s[16:17]
.LBB32_20:
	s_or_b64 exec, exec, s[2:3]
.LBB32_21:
	s_load_dword s0, s[4:5], 0x5c
	s_waitcnt lgkmcnt(0)
	s_bfe_u32 s0, s0, 0x10008
	s_cmp_eq_u32 s0, 0
	s_cbranch_scc1 .LBB32_35
; %bb.22:
	s_load_dwordx2 s[0:1], s[4:5], 0x38
	v_lshlrev_b64 v[0:1], 3, v[4:5]
	s_waitcnt lgkmcnt(0)
	v_mov_b32_e32 v2, s1
	v_add_co_u32_e32 v0, vcc, s0, v0
	v_addc_co_u32_e32 v1, vcc, v2, v1, vcc
	global_load_dwordx4 v[6:9], v[0:1], off
	v_subrev_co_u32_e32 v2, vcc, s10, v10
	v_subb_co_u32_e64 v3, s[0:1], 0, 0, vcc
	s_waitcnt vmcnt(0)
	v_subrev_co_u32_e32 v0, vcc, s10, v8
	v_subbrev_co_u32_e32 v1, vcc, 0, v9, vcc
	v_add_co_u32_e32 v2, vcc, v2, v6
	v_addc_co_u32_e32 v3, vcc, v3, v7, vcc
	v_cmp_lt_i64_e32 vcc, v[2:3], v[0:1]
	s_and_saveexec_b64 s[2:3], vcc
	s_cbranch_execz .LBB32_34
; %bb.23:
	s_load_dwordx2 s[6:7], s[4:5], 0x40
	s_mov_b64 s[8:9], 0
	v_mov_b32_e32 v7, -1
	s_waitcnt lgkmcnt(0)
	v_mov_b32_e32 v6, s7
	s_branch .LBB32_25
.LBB32_24:                              ;   in Loop: Header=BB32_25 Depth=1
	s_or_b64 exec, exec, s[18:19]
	v_add_co_u32_e32 v2, vcc, 8, v2
	v_addc_co_u32_e32 v3, vcc, 0, v3, vcc
	v_cndmask_b32_e64 v8, 0, 1, s[12:13]
	v_cmp_ge_i64_e32 vcc, v[2:3], v[0:1]
	s_or_b64 s[8:9], vcc, s[8:9]
	v_add_u32_e32 v12, v12, v8
	s_andn2_b64 exec, exec, s[8:9]
	s_cbranch_execz .LBB32_33
.LBB32_25:                              ; =>This Loop Header: Depth=1
                                        ;     Child Loop BB32_28 Depth 2
	v_lshlrev_b64 v[8:9], 2, v[2:3]
	v_add_co_u32_e32 v8, vcc, s6, v8
	v_addc_co_u32_e32 v9, vcc, v6, v9, vcc
	global_load_dword v8, v[8:9], off
	s_mov_b64 s[18:19], 0
                                        ; implicit-def: $sgpr12_sgpr13
                                        ; implicit-def: $sgpr14_sgpr15
                                        ; implicit-def: $sgpr16_sgpr17
                                        ; implicit-def: $sgpr20_sgpr21
	s_waitcnt vmcnt(0)
	v_subrev_u32_e32 v8, s10, v8
	v_mul_lo_u32 v9, v8, 15
	v_and_b32_e32 v9, 63, v9
	s_branch .LBB32_28
.LBB32_26:                              ;   in Loop: Header=BB32_28 Depth=2
	s_or_b64 exec, exec, s[26:27]
	s_andn2_b64 s[16:17], s[16:17], exec
	s_and_b64 s[20:21], s[24:25], exec
	s_andn2_b64 s[14:15], s[14:15], exec
	s_and_b64 s[0:1], s[0:1], exec
	s_or_b64 s[16:17], s[16:17], s[20:21]
	s_or_b64 s[14:15], s[14:15], s[0:1]
                                        ; implicit-def: $sgpr20_sgpr21
.LBB32_27:                              ;   in Loop: Header=BB32_28 Depth=2
	s_or_b64 exec, exec, s[22:23]
	s_xor_b64 s[0:1], s[14:15], -1
	s_and_b64 s[0:1], exec, s[0:1]
	s_or_b64 s[18:19], s[0:1], s[18:19]
	s_andn2_b64 s[0:1], s[20:21], exec
	s_and_b64 s[22:23], s[16:17], exec
	s_or_b64 s[20:21], s[0:1], s[22:23]
	s_andn2_b64 s[0:1], s[12:13], exec
	s_or_b64 s[12:13], s[0:1], s[22:23]
	s_andn2_b64 exec, exec, s[18:19]
	s_cbranch_execz .LBB32_24
.LBB32_28:                              ;   Parent Loop BB32_25 Depth=1
                                        ; =>  This Inner Loop Header: Depth=2
	v_lshl_add_u32 v13, v9, 2, v11
	ds_read_b32 v14, v13
	s_andn2_b64 s[16:17], s[16:17], exec
	s_andn2_b64 s[14:15], s[14:15], exec
	s_waitcnt lgkmcnt(0)
	v_cmp_ne_u32_e32 vcc, v14, v8
	s_and_saveexec_b64 s[22:23], vcc
	s_cbranch_execz .LBB32_27
; %bb.29:                               ;   in Loop: Header=BB32_28 Depth=2
	v_cmp_ne_u32_e32 vcc, -1, v14
                                        ; implicit-def: $sgpr24_sgpr25
                                        ; implicit-def: $sgpr0_sgpr1
	s_and_saveexec_b64 s[26:27], vcc
	s_xor_b64 s[26:27], exec, s[26:27]
; %bb.30:                               ;   in Loop: Header=BB32_28 Depth=2
	v_add_u32_e32 v9, 1, v9
	v_and_b32_e32 v9, 63, v9
	s_mov_b64 s[0:1], -1
	s_and_b64 s[24:25], s[20:21], exec
                                        ; implicit-def: $vgpr13
; %bb.31:                               ;   in Loop: Header=BB32_28 Depth=2
	s_andn2_saveexec_b64 s[26:27], s[26:27]
	s_cbranch_execz .LBB32_26
; %bb.32:                               ;   in Loop: Header=BB32_28 Depth=2
	ds_cmpst_rtn_b32 v13, v13, v7, v8
	s_andn2_b64 s[28:29], s[0:1], exec
	s_andn2_b64 s[24:25], s[24:25], exec
	s_waitcnt lgkmcnt(0)
	v_cmp_eq_u32_e64 s[0:1], -1, v13
	v_cmp_ne_u32_e32 vcc, -1, v13
	s_or_b64 s[20:21], s[0:1], s[20:21]
	s_and_b64 s[0:1], vcc, exec
	s_and_b64 s[20:21], s[20:21], exec
	s_or_b64 s[0:1], s[28:29], s[0:1]
	s_or_b64 s[24:25], s[24:25], s[20:21]
	s_branch .LBB32_26
.LBB32_33:
	s_or_b64 exec, exec, s[8:9]
.LBB32_34:
	s_or_b64 exec, exec, s[2:3]
.LBB32_35:
	v_mov_b32_dpp v0, v12 row_shr:1 row_mask:0xf bank_mask:0xf
	v_add_u32_e32 v0, v0, v12
	v_cmp_eq_u32_e32 vcc, 7, v10
	s_nop 0
	v_mov_b32_dpp v1, v0 row_shr:2 row_mask:0xf bank_mask:0xf
	v_add_u32_e32 v0, v0, v1
	s_nop 1
	v_mov_b32_dpp v1, v0 row_shr:4 row_mask:0xf bank_mask:0xe
	s_and_b64 exec, exec, vcc
	s_cbranch_execz .LBB32_37
; %bb.36:
	s_load_dwordx2 s[0:1], s[4:5], 0x48
	v_lshlrev_b64 v[2:3], 3, v[4:5]
	v_add_u32_e32 v0, v0, v1
	v_ashrrev_i32_e32 v1, 31, v0
	s_waitcnt lgkmcnt(0)
	v_mov_b32_e32 v4, s1
	v_add_co_u32_e32 v2, vcc, s0, v2
	v_addc_co_u32_e32 v3, vcc, v4, v3, vcc
	global_store_dwordx2 v[2:3], v[0:1], off
.LBB32_37:
	s_endpgm
	.section	.rodata,"a",@progbits
	.p2align	6, 0x0
	.amdhsa_kernel _ZN9rocsparseL22csrgemm_nnz_wf_per_rowILj256ELj8ELj64ELj79EliEEvT4_PKS1_S3_PKT3_S3_S6_S3_S6_S3_PS4_21rocsparse_index_base_S8_S8_bb
		.amdhsa_group_segment_fixed_size 8192
		.amdhsa_private_segment_fixed_size 0
		.amdhsa_kernarg_size 96
		.amdhsa_user_sgpr_count 6
		.amdhsa_user_sgpr_private_segment_buffer 1
		.amdhsa_user_sgpr_dispatch_ptr 0
		.amdhsa_user_sgpr_queue_ptr 0
		.amdhsa_user_sgpr_kernarg_segment_ptr 1
		.amdhsa_user_sgpr_dispatch_id 0
		.amdhsa_user_sgpr_flat_scratch_init 0
		.amdhsa_user_sgpr_kernarg_preload_length 0
		.amdhsa_user_sgpr_kernarg_preload_offset 0
		.amdhsa_user_sgpr_private_segment_size 0
		.amdhsa_uses_dynamic_stack 0
		.amdhsa_system_sgpr_private_segment_wavefront_offset 0
		.amdhsa_system_sgpr_workgroup_id_x 1
		.amdhsa_system_sgpr_workgroup_id_y 0
		.amdhsa_system_sgpr_workgroup_id_z 0
		.amdhsa_system_sgpr_workgroup_info 0
		.amdhsa_system_vgpr_workitem_id 0
		.amdhsa_next_free_vgpr 20
		.amdhsa_next_free_sgpr 42
		.amdhsa_accum_offset 20
		.amdhsa_reserve_vcc 1
		.amdhsa_reserve_flat_scratch 0
		.amdhsa_float_round_mode_32 0
		.amdhsa_float_round_mode_16_64 0
		.amdhsa_float_denorm_mode_32 3
		.amdhsa_float_denorm_mode_16_64 3
		.amdhsa_dx10_clamp 1
		.amdhsa_ieee_mode 1
		.amdhsa_fp16_overflow 0
		.amdhsa_tg_split 0
		.amdhsa_exception_fp_ieee_invalid_op 0
		.amdhsa_exception_fp_denorm_src 0
		.amdhsa_exception_fp_ieee_div_zero 0
		.amdhsa_exception_fp_ieee_overflow 0
		.amdhsa_exception_fp_ieee_underflow 0
		.amdhsa_exception_fp_ieee_inexact 0
		.amdhsa_exception_int_div_zero 0
	.end_amdhsa_kernel
	.section	.text._ZN9rocsparseL22csrgemm_nnz_wf_per_rowILj256ELj8ELj64ELj79EliEEvT4_PKS1_S3_PKT3_S3_S6_S3_S6_S3_PS4_21rocsparse_index_base_S8_S8_bb,"axG",@progbits,_ZN9rocsparseL22csrgemm_nnz_wf_per_rowILj256ELj8ELj64ELj79EliEEvT4_PKS1_S3_PKT3_S3_S6_S3_S6_S3_PS4_21rocsparse_index_base_S8_S8_bb,comdat
.Lfunc_end32:
	.size	_ZN9rocsparseL22csrgemm_nnz_wf_per_rowILj256ELj8ELj64ELj79EliEEvT4_PKS1_S3_PKT3_S3_S6_S3_S6_S3_PS4_21rocsparse_index_base_S8_S8_bb, .Lfunc_end32-_ZN9rocsparseL22csrgemm_nnz_wf_per_rowILj256ELj8ELj64ELj79EliEEvT4_PKS1_S3_PKT3_S3_S6_S3_S6_S3_PS4_21rocsparse_index_base_S8_S8_bb
                                        ; -- End function
	.section	.AMDGPU.csdata,"",@progbits
; Kernel info:
; codeLenInByte = 1344
; NumSgprs: 46
; NumVgprs: 20
; NumAgprs: 0
; TotalNumVgprs: 20
; ScratchSize: 0
; MemoryBound: 0
; FloatMode: 240
; IeeeMode: 1
; LDSByteSize: 8192 bytes/workgroup (compile time only)
; SGPRBlocks: 5
; VGPRBlocks: 2
; NumSGPRsForWavesPerEU: 46
; NumVGPRsForWavesPerEU: 20
; AccumOffset: 20
; Occupancy: 8
; WaveLimiterHint : 1
; COMPUTE_PGM_RSRC2:SCRATCH_EN: 0
; COMPUTE_PGM_RSRC2:USER_SGPR: 6
; COMPUTE_PGM_RSRC2:TRAP_HANDLER: 0
; COMPUTE_PGM_RSRC2:TGID_X_EN: 1
; COMPUTE_PGM_RSRC2:TGID_Y_EN: 0
; COMPUTE_PGM_RSRC2:TGID_Z_EN: 0
; COMPUTE_PGM_RSRC2:TIDIG_COMP_CNT: 0
; COMPUTE_PGM_RSRC3_GFX90A:ACCUM_OFFSET: 4
; COMPUTE_PGM_RSRC3_GFX90A:TG_SPLIT: 0
	.section	.text._ZN9rocsparseL25csrgemm_nnz_block_per_rowILj128ELj8ELj512ELj79EliEEvPKT4_S3_PKT3_S3_S6_S3_S6_S3_PS4_21rocsparse_index_base_S8_S8_bb,"axG",@progbits,_ZN9rocsparseL25csrgemm_nnz_block_per_rowILj128ELj8ELj512ELj79EliEEvPKT4_S3_PKT3_S3_S6_S3_S6_S3_PS4_21rocsparse_index_base_S8_S8_bb,comdat
	.globl	_ZN9rocsparseL25csrgemm_nnz_block_per_rowILj128ELj8ELj512ELj79EliEEvPKT4_S3_PKT3_S3_S6_S3_S6_S3_PS4_21rocsparse_index_base_S8_S8_bb ; -- Begin function _ZN9rocsparseL25csrgemm_nnz_block_per_rowILj128ELj8ELj512ELj79EliEEvPKT4_S3_PKT3_S3_S6_S3_S6_S3_PS4_21rocsparse_index_base_S8_S8_bb
	.p2align	8
	.type	_ZN9rocsparseL25csrgemm_nnz_block_per_rowILj128ELj8ELj512ELj79EliEEvPKT4_S3_PKT3_S3_S6_S3_S6_S3_PS4_21rocsparse_index_base_S8_S8_bb,@function
_ZN9rocsparseL25csrgemm_nnz_block_per_rowILj128ELj8ELj512ELj79EliEEvPKT4_S3_PKT3_S3_S6_S3_S6_S3_PS4_21rocsparse_index_base_S8_S8_bb: ; @_ZN9rocsparseL25csrgemm_nnz_block_per_rowILj128ELj8ELj512ELj79EliEEvPKT4_S3_PKT3_S3_S6_S3_S6_S3_PS4_21rocsparse_index_base_S8_S8_bb
; %bb.0:
	s_load_dwordx8 s[16:23], s[4:5], 0x0
	s_mov_b32 s1, 0
	v_lshl_add_u32 v1, v0, 2, 0
	s_waitcnt lgkmcnt(0)
	s_load_dword s0, s[16:17], 0x0
	s_load_dwordx2 s[2:3], s[4:5], 0x40
	s_load_dwordx8 s[8:15], s[4:5], 0x20
	s_waitcnt lgkmcnt(0)
	s_add_i32 s0, s0, s6
	s_lshl_b64 s[6:7], s[0:1], 2
	s_add_u32 s6, s18, s6
	s_addc_u32 s7, s19, s7
	s_load_dword s6, s[6:7], 0x0
	s_movk_i32 s0, 0x200
	v_cmp_gt_u32_e32 vcc, s0, v0
	s_and_saveexec_b64 s[16:17], vcc
	s_cbranch_execz .LBB33_7
; %bb.1:
	s_mov_b64 s[18:19], 0
	v_mov_b32_e32 v2, -1
	v_mov_b32_e32 v3, v1
	s_branch .LBB33_3
.LBB33_2:                               ;   in Loop: Header=BB33_3 Depth=1
	s_or_b64 exec, exec, s[26:27]
	s_add_i32 s1, s1, 2
	v_cmp_eq_u32_e64 s[24:25], 4, s1
	s_or_b64 s[18:19], s[24:25], s[18:19]
	v_add_u32_e32 v3, 0x400, v3
	s_andn2_b64 exec, exec, s[18:19]
	s_cbranch_execz .LBB33_7
.LBB33_3:                               ; =>This Inner Loop Header: Depth=1
	s_or_b32 s0, s1, 1
	v_cmp_le_u32_e64 s[24:25], s0, 3
	v_cmp_le_u32_e64 s[28:29], s1, 3
	s_and_saveexec_b64 s[26:27], s[28:29]
	s_cbranch_execz .LBB33_5
; %bb.4:                                ;   in Loop: Header=BB33_3 Depth=1
	ds_write_b32 v3, v2
.LBB33_5:                               ;   in Loop: Header=BB33_3 Depth=1
	s_or_b64 exec, exec, s[26:27]
	s_and_saveexec_b64 s[26:27], s[24:25]
	s_cbranch_execz .LBB33_2
; %bb.6:                                ;   in Loop: Header=BB33_3 Depth=1
	ds_write_b32 v3, v2 offset:512
	s_branch .LBB33_2
.LBB33_7:
	s_or_b64 exec, exec, s[16:17]
	s_load_dwordx4 s[16:19], s[4:5], 0x48
	v_and_b32_e32 v9, 7, v0
	v_lshrrev_b32_e32 v8, 3, v0
	v_mov_b32_e32 v10, 0
	s_waitcnt lgkmcnt(0)
	s_bitcmp0_b32 s19, 0
	s_barrier
	s_cbranch_scc1 .LBB33_25
; %bb.8:
	s_ashr_i32 s7, s6, 31
	s_lshl_b64 s[0:1], s[6:7], 3
	s_add_u32 s0, s20, s0
	s_addc_u32 s1, s21, s1
	s_load_dwordx4 s[24:27], s[0:1], 0x0
	v_subrev_co_u32_e32 v2, vcc, s16, v8
	v_subb_co_u32_e64 v3, s[0:1], 0, 0, vcc
	s_waitcnt lgkmcnt(0)
	s_sub_u32 s20, s26, s16
	v_mov_b32_e32 v4, s25
	v_add_co_u32_e32 v2, vcc, s24, v2
	s_subb_u32 s21, s27, 0
	v_addc_co_u32_e32 v3, vcc, v3, v4, vcc
	v_cmp_gt_i64_e32 vcc, s[20:21], v[2:3]
	v_mov_b32_e32 v10, 0
	s_and_saveexec_b64 s[24:25], vcc
	s_cbranch_execz .LBB33_24
; %bb.9:
	s_mov_b32 s19, 0
	v_subrev_co_u32_e32 v11, vcc, s17, v9
	s_mov_b32 s7, s17
	v_subb_co_u32_e64 v12, s[0:1], 0, 0, vcc
	s_mov_b64 s[26:27], 0
	v_mov_b32_e32 v10, 0
	v_mov_b32_e32 v13, s23
	;; [unrolled: 1-line block ×4, first 2 shown]
	s_movk_i32 s9, 0x4f
	v_mov_b32_e32 v16, -1
	s_branch .LBB33_12
.LBB33_10:                              ;   in Loop: Header=BB33_12 Depth=1
	s_or_b64 exec, exec, s[30:31]
.LBB33_11:                              ;   in Loop: Header=BB33_12 Depth=1
	s_or_b64 exec, exec, s[28:29]
	v_add_co_u32_e32 v2, vcc, 16, v2
	v_addc_co_u32_e32 v3, vcc, 0, v3, vcc
	v_cmp_le_i64_e32 vcc, s[20:21], v[2:3]
	s_or_b64 s[26:27], vcc, s[26:27]
	s_andn2_b64 exec, exec, s[26:27]
	s_cbranch_execz .LBB33_23
.LBB33_12:                              ; =>This Loop Header: Depth=1
                                        ;     Child Loop BB33_15 Depth 2
                                        ;       Child Loop BB33_18 Depth 3
	v_lshlrev_b64 v[4:5], 2, v[2:3]
	v_add_co_u32_e32 v4, vcc, s22, v4
	v_addc_co_u32_e32 v5, vcc, v13, v5, vcc
	global_load_dword v4, v[4:5], off
	s_waitcnt vmcnt(0)
	v_subrev_u32_e32 v4, s16, v4
	v_ashrrev_i32_e32 v5, 31, v4
	v_lshlrev_b64 v[4:5], 3, v[4:5]
	v_add_co_u32_e32 v4, vcc, s8, v4
	v_addc_co_u32_e32 v5, vcc, v14, v5, vcc
	global_load_dwordx4 v[18:21], v[4:5], off
	s_waitcnt vmcnt(0)
	v_subrev_co_u32_e32 v4, vcc, s7, v20
	v_subb_co_u32_e32 v5, vcc, v21, v15, vcc
	v_add_co_u32_e32 v6, vcc, v11, v18
	v_addc_co_u32_e32 v7, vcc, v12, v19, vcc
	v_cmp_lt_i64_e32 vcc, v[6:7], v[4:5]
	s_and_saveexec_b64 s[28:29], vcc
	s_cbranch_execz .LBB33_11
; %bb.13:                               ;   in Loop: Header=BB33_12 Depth=1
	s_mov_b64 s[30:31], 0
	s_branch .LBB33_15
.LBB33_14:                              ;   in Loop: Header=BB33_15 Depth=2
	s_or_b64 exec, exec, s[40:41]
	v_add_co_u32_e32 v6, vcc, 8, v6
	v_addc_co_u32_e32 v7, vcc, 0, v7, vcc
	v_cndmask_b32_e64 v17, 0, 1, s[34:35]
	v_cmp_ge_i64_e32 vcc, v[6:7], v[4:5]
	s_or_b64 s[30:31], vcc, s[30:31]
	v_add_u32_e32 v10, v10, v17
	s_andn2_b64 exec, exec, s[30:31]
	s_cbranch_execz .LBB33_10
.LBB33_15:                              ;   Parent Loop BB33_12 Depth=1
                                        ; =>  This Loop Header: Depth=2
                                        ;       Child Loop BB33_18 Depth 3
	v_lshlrev_b64 v[18:19], 2, v[6:7]
	v_mov_b32_e32 v17, s11
	v_add_co_u32_e32 v18, vcc, s10, v18
	v_addc_co_u32_e32 v19, vcc, v17, v19, vcc
	global_load_dword v17, v[18:19], off
	s_mov_b64 s[40:41], 0
                                        ; implicit-def: $sgpr34_sgpr35
                                        ; implicit-def: $sgpr36_sgpr37
                                        ; implicit-def: $sgpr38_sgpr39
                                        ; implicit-def: $sgpr42_sgpr43
	s_waitcnt vmcnt(0)
	v_subrev_u32_e32 v17, s17, v17
	v_mul_lo_u32 v18, v17, s9
	v_and_b32_e32 v18, 0x1ff, v18
	s_branch .LBB33_18
.LBB33_16:                              ;   in Loop: Header=BB33_18 Depth=3
	s_or_b64 exec, exec, s[48:49]
	s_andn2_b64 s[38:39], s[38:39], exec
	s_and_b64 s[42:43], s[46:47], exec
	s_andn2_b64 s[36:37], s[36:37], exec
	s_and_b64 s[0:1], s[0:1], exec
	s_or_b64 s[38:39], s[38:39], s[42:43]
	s_or_b64 s[36:37], s[36:37], s[0:1]
                                        ; implicit-def: $sgpr42_sgpr43
.LBB33_17:                              ;   in Loop: Header=BB33_18 Depth=3
	s_or_b64 exec, exec, s[44:45]
	s_xor_b64 s[0:1], s[36:37], -1
	s_and_b64 s[0:1], exec, s[0:1]
	s_or_b64 s[40:41], s[0:1], s[40:41]
	s_andn2_b64 s[0:1], s[42:43], exec
	s_and_b64 s[44:45], s[38:39], exec
	s_or_b64 s[42:43], s[0:1], s[44:45]
	s_andn2_b64 s[0:1], s[34:35], exec
	s_or_b64 s[34:35], s[0:1], s[44:45]
	s_andn2_b64 exec, exec, s[40:41]
	s_cbranch_execz .LBB33_14
.LBB33_18:                              ;   Parent Loop BB33_12 Depth=1
                                        ;     Parent Loop BB33_15 Depth=2
                                        ; =>    This Inner Loop Header: Depth=3
	v_lshl_add_u32 v19, v18, 2, 0
	ds_read_b32 v20, v19
	s_andn2_b64 s[38:39], s[38:39], exec
	s_andn2_b64 s[36:37], s[36:37], exec
	s_waitcnt lgkmcnt(0)
	v_cmp_ne_u32_e32 vcc, v20, v17
	s_and_saveexec_b64 s[44:45], vcc
	s_cbranch_execz .LBB33_17
; %bb.19:                               ;   in Loop: Header=BB33_18 Depth=3
	v_cmp_ne_u32_e32 vcc, -1, v20
                                        ; implicit-def: $sgpr46_sgpr47
                                        ; implicit-def: $sgpr0_sgpr1
	s_and_saveexec_b64 s[48:49], vcc
	s_xor_b64 s[48:49], exec, s[48:49]
; %bb.20:                               ;   in Loop: Header=BB33_18 Depth=3
	v_add_u32_e32 v18, 1, v18
	v_and_b32_e32 v18, 0x1ff, v18
	s_mov_b64 s[0:1], -1
	s_and_b64 s[46:47], s[42:43], exec
                                        ; implicit-def: $vgpr19
; %bb.21:                               ;   in Loop: Header=BB33_18 Depth=3
	s_andn2_saveexec_b64 s[48:49], s[48:49]
	s_cbranch_execz .LBB33_16
; %bb.22:                               ;   in Loop: Header=BB33_18 Depth=3
	ds_cmpst_rtn_b32 v19, v19, v16, v17
	s_andn2_b64 s[50:51], s[0:1], exec
	s_andn2_b64 s[46:47], s[46:47], exec
	s_waitcnt lgkmcnt(0)
	v_cmp_eq_u32_e64 s[0:1], -1, v19
	v_cmp_ne_u32_e32 vcc, -1, v19
	s_or_b64 s[42:43], s[0:1], s[42:43]
	s_and_b64 s[0:1], vcc, exec
	s_and_b64 s[42:43], s[42:43], exec
	s_or_b64 s[0:1], s[50:51], s[0:1]
	s_or_b64 s[46:47], s[46:47], s[42:43]
	s_branch .LBB33_16
.LBB33_23:
	s_or_b64 exec, exec, s[26:27]
.LBB33_24:
	s_or_b64 exec, exec, s[24:25]
.LBB33_25:
	s_load_dword s0, s[4:5], 0x54
	s_waitcnt lgkmcnt(0)
	s_bfe_u32 s0, s0, 0x10008
	s_cmp_eq_u32 s0, 0
	s_cbranch_scc1 .LBB33_39
; %bb.26:
	s_ashr_i32 s7, s6, 31
	s_lshl_b64 s[0:1], s[6:7], 3
	s_add_u32 s0, s12, s0
	s_addc_u32 s1, s13, s1
	s_load_dwordx4 s[8:11], s[0:1], 0x0
	v_subrev_co_u32_e32 v2, vcc, s18, v8
	v_subb_co_u32_e64 v3, s[0:1], 0, 0, vcc
	s_waitcnt lgkmcnt(0)
	s_sub_u32 s4, s10, s18
	v_mov_b32_e32 v4, s9
	v_add_co_u32_e32 v2, vcc, s8, v2
	s_subb_u32 s5, s11, 0
	v_addc_co_u32_e32 v3, vcc, v3, v4, vcc
	v_cmp_gt_i64_e32 vcc, s[4:5], v[2:3]
	s_and_saveexec_b64 s[8:9], vcc
	s_cbranch_execz .LBB33_38
; %bb.27:
	s_mov_b64 s[10:11], 0
	v_mov_b32_e32 v4, s15
	s_movk_i32 s7, 0x4f
	v_mov_b32_e32 v5, -1
	s_branch .LBB33_29
.LBB33_28:                              ;   in Loop: Header=BB33_29 Depth=1
	s_or_b64 exec, exec, s[22:23]
	v_add_co_u32_e32 v2, vcc, 16, v2
	v_addc_co_u32_e32 v3, vcc, 0, v3, vcc
	v_cndmask_b32_e64 v6, 0, 1, s[12:13]
	v_cmp_le_i64_e32 vcc, s[4:5], v[2:3]
	s_or_b64 s[10:11], vcc, s[10:11]
	v_add_u32_e32 v10, v10, v6
	s_andn2_b64 exec, exec, s[10:11]
	s_cbranch_execz .LBB33_37
.LBB33_29:                              ; =>This Loop Header: Depth=1
                                        ;     Child Loop BB33_32 Depth 2
	v_lshlrev_b64 v[6:7], 2, v[2:3]
	v_add_co_u32_e32 v6, vcc, s14, v6
	v_addc_co_u32_e32 v7, vcc, v4, v7, vcc
	global_load_dword v6, v[6:7], off
	s_mov_b64 s[22:23], 0
                                        ; implicit-def: $sgpr12_sgpr13
                                        ; implicit-def: $sgpr16_sgpr17
                                        ; implicit-def: $sgpr20_sgpr21
                                        ; implicit-def: $sgpr24_sgpr25
	s_waitcnt vmcnt(0)
	v_subrev_u32_e32 v6, s18, v6
	v_mul_lo_u32 v7, v6, s7
	v_and_b32_e32 v7, 0x1ff, v7
	s_branch .LBB33_32
.LBB33_30:                              ;   in Loop: Header=BB33_32 Depth=2
	s_or_b64 exec, exec, s[30:31]
	s_andn2_b64 s[20:21], s[20:21], exec
	s_and_b64 s[24:25], s[28:29], exec
	s_andn2_b64 s[16:17], s[16:17], exec
	s_and_b64 s[0:1], s[0:1], exec
	s_or_b64 s[20:21], s[20:21], s[24:25]
	s_or_b64 s[16:17], s[16:17], s[0:1]
                                        ; implicit-def: $sgpr24_sgpr25
.LBB33_31:                              ;   in Loop: Header=BB33_32 Depth=2
	s_or_b64 exec, exec, s[26:27]
	s_xor_b64 s[0:1], s[16:17], -1
	s_and_b64 s[0:1], exec, s[0:1]
	s_or_b64 s[22:23], s[0:1], s[22:23]
	s_andn2_b64 s[0:1], s[24:25], exec
	s_and_b64 s[26:27], s[20:21], exec
	s_or_b64 s[24:25], s[0:1], s[26:27]
	s_andn2_b64 s[0:1], s[12:13], exec
	s_or_b64 s[12:13], s[0:1], s[26:27]
	s_andn2_b64 exec, exec, s[22:23]
	s_cbranch_execz .LBB33_28
.LBB33_32:                              ;   Parent Loop BB33_29 Depth=1
                                        ; =>  This Inner Loop Header: Depth=2
	v_lshl_add_u32 v11, v7, 2, 0
	ds_read_b32 v12, v11
	s_andn2_b64 s[20:21], s[20:21], exec
	s_andn2_b64 s[16:17], s[16:17], exec
	s_waitcnt lgkmcnt(0)
	v_cmp_ne_u32_e32 vcc, v12, v6
	s_and_saveexec_b64 s[26:27], vcc
	s_cbranch_execz .LBB33_31
; %bb.33:                               ;   in Loop: Header=BB33_32 Depth=2
	v_cmp_ne_u32_e32 vcc, -1, v12
                                        ; implicit-def: $sgpr28_sgpr29
                                        ; implicit-def: $sgpr0_sgpr1
	s_and_saveexec_b64 s[30:31], vcc
	s_xor_b64 s[30:31], exec, s[30:31]
; %bb.34:                               ;   in Loop: Header=BB33_32 Depth=2
	v_add_u32_e32 v7, 1, v7
	v_and_b32_e32 v7, 0x1ff, v7
	s_mov_b64 s[0:1], -1
	s_and_b64 s[28:29], s[24:25], exec
                                        ; implicit-def: $vgpr11
; %bb.35:                               ;   in Loop: Header=BB33_32 Depth=2
	s_andn2_saveexec_b64 s[30:31], s[30:31]
	s_cbranch_execz .LBB33_30
; %bb.36:                               ;   in Loop: Header=BB33_32 Depth=2
	ds_cmpst_rtn_b32 v11, v11, v5, v6
	s_andn2_b64 s[34:35], s[0:1], exec
	s_andn2_b64 s[28:29], s[28:29], exec
	s_waitcnt lgkmcnt(0)
	v_cmp_eq_u32_e64 s[0:1], -1, v11
	v_cmp_ne_u32_e32 vcc, -1, v11
	s_or_b64 s[24:25], s[0:1], s[24:25]
	s_and_b64 s[0:1], vcc, exec
	s_and_b64 s[24:25], s[24:25], exec
	s_or_b64 s[0:1], s[34:35], s[0:1]
	s_or_b64 s[28:29], s[28:29], s[24:25]
	s_branch .LBB33_30
.LBB33_37:
	s_or_b64 exec, exec, s[10:11]
.LBB33_38:
	s_or_b64 exec, exec, s[8:9]
.LBB33_39:
	v_mov_b32_dpp v2, v10 row_shr:1 row_mask:0xf bank_mask:0xf
	v_add_u32_e32 v2, v2, v10
	v_cmp_eq_u32_e32 vcc, 7, v9
	s_nop 0
	v_mov_b32_dpp v3, v2 row_shr:2 row_mask:0xf bank_mask:0xf
	v_add_u32_e32 v2, v2, v3
	s_barrier
	s_nop 0
	v_mov_b32_dpp v3, v2 row_shr:4 row_mask:0xf bank_mask:0xe
	s_and_saveexec_b64 s[0:1], vcc
	s_cbranch_execz .LBB33_41
; %bb.40:
	v_lshl_add_u32 v4, v8, 2, 0
	v_add_u32_e32 v2, v2, v3
	ds_write_b32 v4, v2
.LBB33_41:
	s_or_b64 exec, exec, s[0:1]
	v_cmp_gt_u32_e32 vcc, 16, v0
	v_mov_b32_e32 v2, 0
	s_waitcnt lgkmcnt(0)
	s_barrier
	s_and_saveexec_b64 s[0:1], vcc
	s_cbranch_execz .LBB33_43
; %bb.42:
	ds_read_b32 v2, v1
.LBB33_43:
	s_or_b64 exec, exec, s[0:1]
	s_waitcnt lgkmcnt(0)
	v_mov_b32_dpp v1, v2 row_shr:1 row_mask:0xf bank_mask:0xf
	v_add_u32_e32 v1, v1, v2
	v_cmp_eq_u32_e32 vcc, 15, v0
	s_nop 0
	v_mov_b32_dpp v2, v1 row_shr:2 row_mask:0xf bank_mask:0xf
	v_add_u32_e32 v1, v1, v2
	s_nop 1
	v_mov_b32_dpp v2, v1 row_shr:4 row_mask:0xf bank_mask:0xe
	v_add_u32_e32 v1, v1, v2
	s_nop 1
	v_mov_b32_dpp v2, v1 row_shr:8 row_mask:0xf bank_mask:0xc
	s_and_saveexec_b64 s[0:1], vcc
	s_cbranch_execz .LBB33_45
; %bb.44:
	s_ashr_i32 s7, s6, 31
	s_lshl_b64 s[0:1], s[6:7], 3
	s_add_u32 s0, s2, s0
	v_add_u32_e32 v0, v1, v2
	s_addc_u32 s1, s3, s1
	v_mov_b32_e32 v3, 0
	v_ashrrev_i32_e32 v1, 31, v0
	global_store_dwordx2 v3, v[0:1], s[0:1]
.LBB33_45:
	s_endpgm
	.section	.rodata,"a",@progbits
	.p2align	6, 0x0
	.amdhsa_kernel _ZN9rocsparseL25csrgemm_nnz_block_per_rowILj128ELj8ELj512ELj79EliEEvPKT4_S3_PKT3_S3_S6_S3_S6_S3_PS4_21rocsparse_index_base_S8_S8_bb
		.amdhsa_group_segment_fixed_size 0
		.amdhsa_private_segment_fixed_size 0
		.amdhsa_kernarg_size 88
		.amdhsa_user_sgpr_count 6
		.amdhsa_user_sgpr_private_segment_buffer 1
		.amdhsa_user_sgpr_dispatch_ptr 0
		.amdhsa_user_sgpr_queue_ptr 0
		.amdhsa_user_sgpr_kernarg_segment_ptr 1
		.amdhsa_user_sgpr_dispatch_id 0
		.amdhsa_user_sgpr_flat_scratch_init 0
		.amdhsa_user_sgpr_kernarg_preload_length 0
		.amdhsa_user_sgpr_kernarg_preload_offset 0
		.amdhsa_user_sgpr_private_segment_size 0
		.amdhsa_uses_dynamic_stack 0
		.amdhsa_system_sgpr_private_segment_wavefront_offset 0
		.amdhsa_system_sgpr_workgroup_id_x 1
		.amdhsa_system_sgpr_workgroup_id_y 0
		.amdhsa_system_sgpr_workgroup_id_z 0
		.amdhsa_system_sgpr_workgroup_info 0
		.amdhsa_system_vgpr_workitem_id 0
		.amdhsa_next_free_vgpr 22
		.amdhsa_next_free_sgpr 52
		.amdhsa_accum_offset 24
		.amdhsa_reserve_vcc 1
		.amdhsa_reserve_flat_scratch 0
		.amdhsa_float_round_mode_32 0
		.amdhsa_float_round_mode_16_64 0
		.amdhsa_float_denorm_mode_32 3
		.amdhsa_float_denorm_mode_16_64 3
		.amdhsa_dx10_clamp 1
		.amdhsa_ieee_mode 1
		.amdhsa_fp16_overflow 0
		.amdhsa_tg_split 0
		.amdhsa_exception_fp_ieee_invalid_op 0
		.amdhsa_exception_fp_denorm_src 0
		.amdhsa_exception_fp_ieee_div_zero 0
		.amdhsa_exception_fp_ieee_overflow 0
		.amdhsa_exception_fp_ieee_underflow 0
		.amdhsa_exception_fp_ieee_inexact 0
		.amdhsa_exception_int_div_zero 0
	.end_amdhsa_kernel
	.section	.text._ZN9rocsparseL25csrgemm_nnz_block_per_rowILj128ELj8ELj512ELj79EliEEvPKT4_S3_PKT3_S3_S6_S3_S6_S3_PS4_21rocsparse_index_base_S8_S8_bb,"axG",@progbits,_ZN9rocsparseL25csrgemm_nnz_block_per_rowILj128ELj8ELj512ELj79EliEEvPKT4_S3_PKT3_S3_S6_S3_S6_S3_PS4_21rocsparse_index_base_S8_S8_bb,comdat
.Lfunc_end33:
	.size	_ZN9rocsparseL25csrgemm_nnz_block_per_rowILj128ELj8ELj512ELj79EliEEvPKT4_S3_PKT3_S3_S6_S3_S6_S3_PS4_21rocsparse_index_base_S8_S8_bb, .Lfunc_end33-_ZN9rocsparseL25csrgemm_nnz_block_per_rowILj128ELj8ELj512ELj79EliEEvPKT4_S3_PKT3_S3_S6_S3_S6_S3_PS4_21rocsparse_index_base_S8_S8_bb
                                        ; -- End function
	.section	.AMDGPU.csdata,"",@progbits
; Kernel info:
; codeLenInByte = 1480
; NumSgprs: 56
; NumVgprs: 22
; NumAgprs: 0
; TotalNumVgprs: 22
; ScratchSize: 0
; MemoryBound: 0
; FloatMode: 240
; IeeeMode: 1
; LDSByteSize: 0 bytes/workgroup (compile time only)
; SGPRBlocks: 6
; VGPRBlocks: 2
; NumSGPRsForWavesPerEU: 56
; NumVGPRsForWavesPerEU: 22
; AccumOffset: 24
; Occupancy: 8
; WaveLimiterHint : 1
; COMPUTE_PGM_RSRC2:SCRATCH_EN: 0
; COMPUTE_PGM_RSRC2:USER_SGPR: 6
; COMPUTE_PGM_RSRC2:TRAP_HANDLER: 0
; COMPUTE_PGM_RSRC2:TGID_X_EN: 1
; COMPUTE_PGM_RSRC2:TGID_Y_EN: 0
; COMPUTE_PGM_RSRC2:TGID_Z_EN: 0
; COMPUTE_PGM_RSRC2:TIDIG_COMP_CNT: 0
; COMPUTE_PGM_RSRC3_GFX90A:ACCUM_OFFSET: 5
; COMPUTE_PGM_RSRC3_GFX90A:TG_SPLIT: 0
	.section	.text._ZN9rocsparseL25csrgemm_nnz_block_per_rowILj128ELj8ELj1024ELj79EliEEvPKT4_S3_PKT3_S3_S6_S3_S6_S3_PS4_21rocsparse_index_base_S8_S8_bb,"axG",@progbits,_ZN9rocsparseL25csrgemm_nnz_block_per_rowILj128ELj8ELj1024ELj79EliEEvPKT4_S3_PKT3_S3_S6_S3_S6_S3_PS4_21rocsparse_index_base_S8_S8_bb,comdat
	.globl	_ZN9rocsparseL25csrgemm_nnz_block_per_rowILj128ELj8ELj1024ELj79EliEEvPKT4_S3_PKT3_S3_S6_S3_S6_S3_PS4_21rocsparse_index_base_S8_S8_bb ; -- Begin function _ZN9rocsparseL25csrgemm_nnz_block_per_rowILj128ELj8ELj1024ELj79EliEEvPKT4_S3_PKT3_S3_S6_S3_S6_S3_PS4_21rocsparse_index_base_S8_S8_bb
	.p2align	8
	.type	_ZN9rocsparseL25csrgemm_nnz_block_per_rowILj128ELj8ELj1024ELj79EliEEvPKT4_S3_PKT3_S3_S6_S3_S6_S3_PS4_21rocsparse_index_base_S8_S8_bb,@function
_ZN9rocsparseL25csrgemm_nnz_block_per_rowILj128ELj8ELj1024ELj79EliEEvPKT4_S3_PKT3_S3_S6_S3_S6_S3_PS4_21rocsparse_index_base_S8_S8_bb: ; @_ZN9rocsparseL25csrgemm_nnz_block_per_rowILj128ELj8ELj1024ELj79EliEEvPKT4_S3_PKT3_S3_S6_S3_S6_S3_PS4_21rocsparse_index_base_S8_S8_bb
; %bb.0:
	s_load_dwordx8 s[16:23], s[4:5], 0x0
	s_mov_b32 s1, 0
	v_lshl_add_u32 v1, v0, 2, 0
	v_mov_b32_e32 v2, -1
	s_waitcnt lgkmcnt(0)
	s_load_dword s0, s[16:17], 0x0
	s_load_dwordx2 s[2:3], s[4:5], 0x40
	s_load_dwordx8 s[8:15], s[4:5], 0x20
	s_mov_b64 s[16:17], 0
	s_waitcnt lgkmcnt(0)
	s_add_i32 s0, s0, s6
	s_lshl_b64 s[6:7], s[0:1], 2
	s_add_u32 s6, s18, s6
	s_addc_u32 s7, s19, s7
	s_load_dword s6, s[6:7], 0x0
	s_branch .LBB34_2
.LBB34_1:                               ;   in Loop: Header=BB34_2 Depth=1
	s_or_b64 exec, exec, s[24:25]
	s_add_i32 s1, s1, 2
	v_cmp_eq_u32_e64 s[18:19], 8, s1
	s_or_b64 s[16:17], s[18:19], s[16:17]
	v_add_u32_e32 v1, 0x400, v1
	s_andn2_b64 exec, exec, s[16:17]
	s_cbranch_execz .LBB34_6
.LBB34_2:                               ; =>This Inner Loop Header: Depth=1
	s_or_b32 s0, s1, 1
	v_cmp_le_u32_e64 s[18:19], s0, 7
	v_cmp_le_u32_e64 s[26:27], s1, 7
	s_and_saveexec_b64 s[24:25], s[26:27]
	s_cbranch_execz .LBB34_4
; %bb.3:                                ;   in Loop: Header=BB34_2 Depth=1
	ds_write_b32 v1, v2
.LBB34_4:                               ;   in Loop: Header=BB34_2 Depth=1
	s_or_b64 exec, exec, s[24:25]
	s_and_saveexec_b64 s[24:25], s[18:19]
	s_cbranch_execz .LBB34_1
; %bb.5:                                ;   in Loop: Header=BB34_2 Depth=1
	ds_write_b32 v1, v2 offset:512
	s_branch .LBB34_1
.LBB34_6:
	s_or_b64 exec, exec, s[16:17]
	s_load_dwordx4 s[16:19], s[4:5], 0x48
	v_and_b32_e32 v8, 7, v0
	v_lshrrev_b32_e32 v1, 3, v0
	v_mov_b32_e32 v9, 0
	s_waitcnt lgkmcnt(0)
	s_bitcmp0_b32 s19, 0
	s_barrier
	s_cbranch_scc1 .LBB34_24
; %bb.7:
	s_ashr_i32 s7, s6, 31
	s_lshl_b64 s[0:1], s[6:7], 3
	s_add_u32 s0, s20, s0
	s_addc_u32 s1, s21, s1
	s_load_dwordx4 s[24:27], s[0:1], 0x0
	v_subrev_co_u32_e32 v2, vcc, s16, v1
	v_subb_co_u32_e64 v3, s[0:1], 0, 0, vcc
	s_waitcnt lgkmcnt(0)
	s_sub_u32 s20, s26, s16
	v_mov_b32_e32 v4, s25
	v_add_co_u32_e32 v2, vcc, s24, v2
	s_subb_u32 s21, s27, 0
	v_addc_co_u32_e32 v3, vcc, v3, v4, vcc
	v_cmp_gt_i64_e32 vcc, s[20:21], v[2:3]
	v_mov_b32_e32 v9, 0
	s_and_saveexec_b64 s[24:25], vcc
	s_cbranch_execz .LBB34_23
; %bb.8:
	s_mov_b32 s19, 0
	v_subrev_co_u32_e32 v10, vcc, s17, v8
	s_mov_b32 s7, s17
	v_subb_co_u32_e64 v11, s[0:1], 0, 0, vcc
	s_mov_b64 s[26:27], 0
	v_mov_b32_e32 v9, 0
	v_mov_b32_e32 v12, s23
	;; [unrolled: 1-line block ×4, first 2 shown]
	s_movk_i32 s9, 0x4f
	v_mov_b32_e32 v15, -1
	s_branch .LBB34_11
.LBB34_9:                               ;   in Loop: Header=BB34_11 Depth=1
	s_or_b64 exec, exec, s[30:31]
.LBB34_10:                              ;   in Loop: Header=BB34_11 Depth=1
	s_or_b64 exec, exec, s[28:29]
	v_add_co_u32_e32 v2, vcc, 16, v2
	v_addc_co_u32_e32 v3, vcc, 0, v3, vcc
	v_cmp_le_i64_e32 vcc, s[20:21], v[2:3]
	s_or_b64 s[26:27], vcc, s[26:27]
	s_andn2_b64 exec, exec, s[26:27]
	s_cbranch_execz .LBB34_22
.LBB34_11:                              ; =>This Loop Header: Depth=1
                                        ;     Child Loop BB34_14 Depth 2
                                        ;       Child Loop BB34_17 Depth 3
	v_lshlrev_b64 v[4:5], 2, v[2:3]
	v_add_co_u32_e32 v4, vcc, s22, v4
	v_addc_co_u32_e32 v5, vcc, v12, v5, vcc
	global_load_dword v4, v[4:5], off
	s_waitcnt vmcnt(0)
	v_subrev_u32_e32 v4, s16, v4
	v_ashrrev_i32_e32 v5, 31, v4
	v_lshlrev_b64 v[4:5], 3, v[4:5]
	v_add_co_u32_e32 v4, vcc, s8, v4
	v_addc_co_u32_e32 v5, vcc, v13, v5, vcc
	global_load_dwordx4 v[16:19], v[4:5], off
	s_waitcnt vmcnt(0)
	v_subrev_co_u32_e32 v4, vcc, s7, v18
	v_subb_co_u32_e32 v5, vcc, v19, v14, vcc
	v_add_co_u32_e32 v6, vcc, v10, v16
	v_addc_co_u32_e32 v7, vcc, v11, v17, vcc
	v_cmp_lt_i64_e32 vcc, v[6:7], v[4:5]
	s_and_saveexec_b64 s[28:29], vcc
	s_cbranch_execz .LBB34_10
; %bb.12:                               ;   in Loop: Header=BB34_11 Depth=1
	s_mov_b64 s[30:31], 0
	s_branch .LBB34_14
.LBB34_13:                              ;   in Loop: Header=BB34_14 Depth=2
	s_or_b64 exec, exec, s[40:41]
	v_add_co_u32_e32 v6, vcc, 8, v6
	v_addc_co_u32_e32 v7, vcc, 0, v7, vcc
	v_cndmask_b32_e64 v16, 0, 1, s[34:35]
	v_cmp_ge_i64_e32 vcc, v[6:7], v[4:5]
	s_or_b64 s[30:31], vcc, s[30:31]
	v_add_u32_e32 v9, v9, v16
	s_andn2_b64 exec, exec, s[30:31]
	s_cbranch_execz .LBB34_9
.LBB34_14:                              ;   Parent Loop BB34_11 Depth=1
                                        ; =>  This Loop Header: Depth=2
                                        ;       Child Loop BB34_17 Depth 3
	v_lshlrev_b64 v[16:17], 2, v[6:7]
	v_mov_b32_e32 v18, s11
	v_add_co_u32_e32 v16, vcc, s10, v16
	v_addc_co_u32_e32 v17, vcc, v18, v17, vcc
	global_load_dword v16, v[16:17], off
	s_mov_b64 s[40:41], 0
                                        ; implicit-def: $sgpr34_sgpr35
                                        ; implicit-def: $sgpr36_sgpr37
                                        ; implicit-def: $sgpr38_sgpr39
                                        ; implicit-def: $sgpr42_sgpr43
	s_waitcnt vmcnt(0)
	v_subrev_u32_e32 v16, s17, v16
	v_mul_lo_u32 v17, v16, s9
	v_and_b32_e32 v17, 0x3ff, v17
	s_branch .LBB34_17
.LBB34_15:                              ;   in Loop: Header=BB34_17 Depth=3
	s_or_b64 exec, exec, s[48:49]
	s_andn2_b64 s[38:39], s[38:39], exec
	s_and_b64 s[42:43], s[46:47], exec
	s_andn2_b64 s[36:37], s[36:37], exec
	s_and_b64 s[0:1], s[0:1], exec
	s_or_b64 s[38:39], s[38:39], s[42:43]
	s_or_b64 s[36:37], s[36:37], s[0:1]
                                        ; implicit-def: $sgpr42_sgpr43
.LBB34_16:                              ;   in Loop: Header=BB34_17 Depth=3
	s_or_b64 exec, exec, s[44:45]
	s_xor_b64 s[0:1], s[36:37], -1
	s_and_b64 s[0:1], exec, s[0:1]
	s_or_b64 s[40:41], s[0:1], s[40:41]
	s_andn2_b64 s[0:1], s[42:43], exec
	s_and_b64 s[44:45], s[38:39], exec
	s_or_b64 s[42:43], s[0:1], s[44:45]
	s_andn2_b64 s[0:1], s[34:35], exec
	s_or_b64 s[34:35], s[0:1], s[44:45]
	s_andn2_b64 exec, exec, s[40:41]
	s_cbranch_execz .LBB34_13
.LBB34_17:                              ;   Parent Loop BB34_11 Depth=1
                                        ;     Parent Loop BB34_14 Depth=2
                                        ; =>    This Inner Loop Header: Depth=3
	v_lshl_add_u32 v18, v17, 2, 0
	ds_read_b32 v19, v18
	s_andn2_b64 s[38:39], s[38:39], exec
	s_andn2_b64 s[36:37], s[36:37], exec
	s_waitcnt lgkmcnt(0)
	v_cmp_ne_u32_e32 vcc, v19, v16
	s_and_saveexec_b64 s[44:45], vcc
	s_cbranch_execz .LBB34_16
; %bb.18:                               ;   in Loop: Header=BB34_17 Depth=3
	v_cmp_ne_u32_e32 vcc, -1, v19
                                        ; implicit-def: $sgpr46_sgpr47
                                        ; implicit-def: $sgpr0_sgpr1
	s_and_saveexec_b64 s[48:49], vcc
	s_xor_b64 s[48:49], exec, s[48:49]
; %bb.19:                               ;   in Loop: Header=BB34_17 Depth=3
	v_add_u32_e32 v17, 1, v17
	v_and_b32_e32 v17, 0x3ff, v17
	s_mov_b64 s[0:1], -1
	s_and_b64 s[46:47], s[42:43], exec
                                        ; implicit-def: $vgpr18
; %bb.20:                               ;   in Loop: Header=BB34_17 Depth=3
	s_andn2_saveexec_b64 s[48:49], s[48:49]
	s_cbranch_execz .LBB34_15
; %bb.21:                               ;   in Loop: Header=BB34_17 Depth=3
	ds_cmpst_rtn_b32 v18, v18, v15, v16
	s_andn2_b64 s[50:51], s[0:1], exec
	s_andn2_b64 s[46:47], s[46:47], exec
	s_waitcnt lgkmcnt(0)
	v_cmp_eq_u32_e64 s[0:1], -1, v18
	v_cmp_ne_u32_e32 vcc, -1, v18
	s_or_b64 s[42:43], s[0:1], s[42:43]
	s_and_b64 s[0:1], vcc, exec
	s_and_b64 s[42:43], s[42:43], exec
	s_or_b64 s[0:1], s[50:51], s[0:1]
	s_or_b64 s[46:47], s[46:47], s[42:43]
	s_branch .LBB34_15
.LBB34_22:
	s_or_b64 exec, exec, s[26:27]
.LBB34_23:
	s_or_b64 exec, exec, s[24:25]
.LBB34_24:
	s_load_dword s0, s[4:5], 0x54
	s_waitcnt lgkmcnt(0)
	s_bfe_u32 s0, s0, 0x10008
	s_cmp_eq_u32 s0, 0
	s_cbranch_scc1 .LBB34_38
; %bb.25:
	s_ashr_i32 s7, s6, 31
	s_lshl_b64 s[0:1], s[6:7], 3
	s_add_u32 s0, s12, s0
	s_addc_u32 s1, s13, s1
	s_load_dwordx4 s[8:11], s[0:1], 0x0
	v_subrev_co_u32_e32 v2, vcc, s18, v1
	v_subb_co_u32_e64 v3, s[0:1], 0, 0, vcc
	s_waitcnt lgkmcnt(0)
	s_sub_u32 s4, s10, s18
	v_mov_b32_e32 v4, s9
	v_add_co_u32_e32 v2, vcc, s8, v2
	s_subb_u32 s5, s11, 0
	v_addc_co_u32_e32 v3, vcc, v3, v4, vcc
	v_cmp_gt_i64_e32 vcc, s[4:5], v[2:3]
	s_and_saveexec_b64 s[8:9], vcc
	s_cbranch_execz .LBB34_37
; %bb.26:
	s_mov_b64 s[10:11], 0
	v_mov_b32_e32 v4, s15
	s_movk_i32 s7, 0x4f
	v_mov_b32_e32 v5, -1
	s_branch .LBB34_28
.LBB34_27:                              ;   in Loop: Header=BB34_28 Depth=1
	s_or_b64 exec, exec, s[22:23]
	v_add_co_u32_e32 v2, vcc, 16, v2
	v_addc_co_u32_e32 v3, vcc, 0, v3, vcc
	v_cndmask_b32_e64 v6, 0, 1, s[12:13]
	v_cmp_le_i64_e32 vcc, s[4:5], v[2:3]
	s_or_b64 s[10:11], vcc, s[10:11]
	v_add_u32_e32 v9, v9, v6
	s_andn2_b64 exec, exec, s[10:11]
	s_cbranch_execz .LBB34_36
.LBB34_28:                              ; =>This Loop Header: Depth=1
                                        ;     Child Loop BB34_31 Depth 2
	v_lshlrev_b64 v[6:7], 2, v[2:3]
	v_add_co_u32_e32 v6, vcc, s14, v6
	v_addc_co_u32_e32 v7, vcc, v4, v7, vcc
	global_load_dword v6, v[6:7], off
	s_mov_b64 s[22:23], 0
                                        ; implicit-def: $sgpr12_sgpr13
                                        ; implicit-def: $sgpr16_sgpr17
                                        ; implicit-def: $sgpr20_sgpr21
                                        ; implicit-def: $sgpr24_sgpr25
	s_waitcnt vmcnt(0)
	v_subrev_u32_e32 v6, s18, v6
	v_mul_lo_u32 v7, v6, s7
	v_and_b32_e32 v7, 0x3ff, v7
	s_branch .LBB34_31
.LBB34_29:                              ;   in Loop: Header=BB34_31 Depth=2
	s_or_b64 exec, exec, s[30:31]
	s_andn2_b64 s[20:21], s[20:21], exec
	s_and_b64 s[24:25], s[28:29], exec
	s_andn2_b64 s[16:17], s[16:17], exec
	s_and_b64 s[0:1], s[0:1], exec
	s_or_b64 s[20:21], s[20:21], s[24:25]
	s_or_b64 s[16:17], s[16:17], s[0:1]
                                        ; implicit-def: $sgpr24_sgpr25
.LBB34_30:                              ;   in Loop: Header=BB34_31 Depth=2
	s_or_b64 exec, exec, s[26:27]
	s_xor_b64 s[0:1], s[16:17], -1
	s_and_b64 s[0:1], exec, s[0:1]
	s_or_b64 s[22:23], s[0:1], s[22:23]
	s_andn2_b64 s[0:1], s[24:25], exec
	s_and_b64 s[26:27], s[20:21], exec
	s_or_b64 s[24:25], s[0:1], s[26:27]
	s_andn2_b64 s[0:1], s[12:13], exec
	s_or_b64 s[12:13], s[0:1], s[26:27]
	s_andn2_b64 exec, exec, s[22:23]
	s_cbranch_execz .LBB34_27
.LBB34_31:                              ;   Parent Loop BB34_28 Depth=1
                                        ; =>  This Inner Loop Header: Depth=2
	v_lshl_add_u32 v10, v7, 2, 0
	ds_read_b32 v11, v10
	s_andn2_b64 s[20:21], s[20:21], exec
	s_andn2_b64 s[16:17], s[16:17], exec
	s_waitcnt lgkmcnt(0)
	v_cmp_ne_u32_e32 vcc, v11, v6
	s_and_saveexec_b64 s[26:27], vcc
	s_cbranch_execz .LBB34_30
; %bb.32:                               ;   in Loop: Header=BB34_31 Depth=2
	v_cmp_ne_u32_e32 vcc, -1, v11
                                        ; implicit-def: $sgpr28_sgpr29
                                        ; implicit-def: $sgpr0_sgpr1
	s_and_saveexec_b64 s[30:31], vcc
	s_xor_b64 s[30:31], exec, s[30:31]
; %bb.33:                               ;   in Loop: Header=BB34_31 Depth=2
	v_add_u32_e32 v7, 1, v7
	v_and_b32_e32 v7, 0x3ff, v7
	s_mov_b64 s[0:1], -1
	s_and_b64 s[28:29], s[24:25], exec
                                        ; implicit-def: $vgpr10
; %bb.34:                               ;   in Loop: Header=BB34_31 Depth=2
	s_andn2_saveexec_b64 s[30:31], s[30:31]
	s_cbranch_execz .LBB34_29
; %bb.35:                               ;   in Loop: Header=BB34_31 Depth=2
	ds_cmpst_rtn_b32 v10, v10, v5, v6
	s_andn2_b64 s[34:35], s[0:1], exec
	s_andn2_b64 s[28:29], s[28:29], exec
	s_waitcnt lgkmcnt(0)
	v_cmp_eq_u32_e64 s[0:1], -1, v10
	v_cmp_ne_u32_e32 vcc, -1, v10
	s_or_b64 s[24:25], s[0:1], s[24:25]
	s_and_b64 s[0:1], vcc, exec
	s_and_b64 s[24:25], s[24:25], exec
	s_or_b64 s[0:1], s[34:35], s[0:1]
	s_or_b64 s[28:29], s[28:29], s[24:25]
	s_branch .LBB34_29
.LBB34_36:
	s_or_b64 exec, exec, s[10:11]
.LBB34_37:
	s_or_b64 exec, exec, s[8:9]
.LBB34_38:
	v_mov_b32_dpp v2, v9 row_shr:1 row_mask:0xf bank_mask:0xf
	v_add_u32_e32 v2, v2, v9
	v_cmp_eq_u32_e32 vcc, 7, v8
	s_nop 0
	v_mov_b32_dpp v3, v2 row_shr:2 row_mask:0xf bank_mask:0xf
	v_add_u32_e32 v2, v2, v3
	s_barrier
	s_nop 0
	v_mov_b32_dpp v3, v2 row_shr:4 row_mask:0xf bank_mask:0xe
	s_and_saveexec_b64 s[0:1], vcc
	s_cbranch_execz .LBB34_40
; %bb.39:
	v_lshl_add_u32 v1, v1, 2, 0
	v_add_u32_e32 v2, v2, v3
	ds_write_b32 v1, v2
.LBB34_40:
	s_or_b64 exec, exec, s[0:1]
	v_cmp_gt_u32_e32 vcc, 16, v0
	v_mov_b32_e32 v1, 0
	s_waitcnt lgkmcnt(0)
	s_barrier
	s_and_saveexec_b64 s[0:1], vcc
	s_cbranch_execz .LBB34_42
; %bb.41:
	v_lshl_add_u32 v1, v0, 2, 0
	ds_read_b32 v1, v1
.LBB34_42:
	s_or_b64 exec, exec, s[0:1]
	s_waitcnt lgkmcnt(0)
	v_mov_b32_dpp v2, v1 row_shr:1 row_mask:0xf bank_mask:0xf
	v_add_u32_e32 v1, v2, v1
	v_cmp_eq_u32_e32 vcc, 15, v0
	s_nop 0
	v_mov_b32_dpp v2, v1 row_shr:2 row_mask:0xf bank_mask:0xf
	v_add_u32_e32 v1, v1, v2
	s_nop 1
	v_mov_b32_dpp v2, v1 row_shr:4 row_mask:0xf bank_mask:0xe
	v_add_u32_e32 v1, v1, v2
	s_nop 1
	v_mov_b32_dpp v2, v1 row_shr:8 row_mask:0xf bank_mask:0xc
	s_and_saveexec_b64 s[0:1], vcc
	s_cbranch_execz .LBB34_44
; %bb.43:
	s_ashr_i32 s7, s6, 31
	s_lshl_b64 s[0:1], s[6:7], 3
	s_add_u32 s0, s2, s0
	v_add_u32_e32 v0, v1, v2
	s_addc_u32 s1, s3, s1
	v_mov_b32_e32 v3, 0
	v_ashrrev_i32_e32 v1, 31, v0
	global_store_dwordx2 v3, v[0:1], s[0:1]
.LBB34_44:
	s_endpgm
	.section	.rodata,"a",@progbits
	.p2align	6, 0x0
	.amdhsa_kernel _ZN9rocsparseL25csrgemm_nnz_block_per_rowILj128ELj8ELj1024ELj79EliEEvPKT4_S3_PKT3_S3_S6_S3_S6_S3_PS4_21rocsparse_index_base_S8_S8_bb
		.amdhsa_group_segment_fixed_size 0
		.amdhsa_private_segment_fixed_size 0
		.amdhsa_kernarg_size 88
		.amdhsa_user_sgpr_count 6
		.amdhsa_user_sgpr_private_segment_buffer 1
		.amdhsa_user_sgpr_dispatch_ptr 0
		.amdhsa_user_sgpr_queue_ptr 0
		.amdhsa_user_sgpr_kernarg_segment_ptr 1
		.amdhsa_user_sgpr_dispatch_id 0
		.amdhsa_user_sgpr_flat_scratch_init 0
		.amdhsa_user_sgpr_kernarg_preload_length 0
		.amdhsa_user_sgpr_kernarg_preload_offset 0
		.amdhsa_user_sgpr_private_segment_size 0
		.amdhsa_uses_dynamic_stack 0
		.amdhsa_system_sgpr_private_segment_wavefront_offset 0
		.amdhsa_system_sgpr_workgroup_id_x 1
		.amdhsa_system_sgpr_workgroup_id_y 0
		.amdhsa_system_sgpr_workgroup_id_z 0
		.amdhsa_system_sgpr_workgroup_info 0
		.amdhsa_system_vgpr_workitem_id 0
		.amdhsa_next_free_vgpr 20
		.amdhsa_next_free_sgpr 52
		.amdhsa_accum_offset 20
		.amdhsa_reserve_vcc 1
		.amdhsa_reserve_flat_scratch 0
		.amdhsa_float_round_mode_32 0
		.amdhsa_float_round_mode_16_64 0
		.amdhsa_float_denorm_mode_32 3
		.amdhsa_float_denorm_mode_16_64 3
		.amdhsa_dx10_clamp 1
		.amdhsa_ieee_mode 1
		.amdhsa_fp16_overflow 0
		.amdhsa_tg_split 0
		.amdhsa_exception_fp_ieee_invalid_op 0
		.amdhsa_exception_fp_denorm_src 0
		.amdhsa_exception_fp_ieee_div_zero 0
		.amdhsa_exception_fp_ieee_overflow 0
		.amdhsa_exception_fp_ieee_underflow 0
		.amdhsa_exception_fp_ieee_inexact 0
		.amdhsa_exception_int_div_zero 0
	.end_amdhsa_kernel
	.section	.text._ZN9rocsparseL25csrgemm_nnz_block_per_rowILj128ELj8ELj1024ELj79EliEEvPKT4_S3_PKT3_S3_S6_S3_S6_S3_PS4_21rocsparse_index_base_S8_S8_bb,"axG",@progbits,_ZN9rocsparseL25csrgemm_nnz_block_per_rowILj128ELj8ELj1024ELj79EliEEvPKT4_S3_PKT3_S3_S6_S3_S6_S3_PS4_21rocsparse_index_base_S8_S8_bb,comdat
.Lfunc_end34:
	.size	_ZN9rocsparseL25csrgemm_nnz_block_per_rowILj128ELj8ELj1024ELj79EliEEvPKT4_S3_PKT3_S3_S6_S3_S6_S3_PS4_21rocsparse_index_base_S8_S8_bb, .Lfunc_end34-_ZN9rocsparseL25csrgemm_nnz_block_per_rowILj128ELj8ELj1024ELj79EliEEvPKT4_S3_PKT3_S3_S6_S3_S6_S3_PS4_21rocsparse_index_base_S8_S8_bb
                                        ; -- End function
	.section	.AMDGPU.csdata,"",@progbits
; Kernel info:
; codeLenInByte = 1468
; NumSgprs: 56
; NumVgprs: 20
; NumAgprs: 0
; TotalNumVgprs: 20
; ScratchSize: 0
; MemoryBound: 0
; FloatMode: 240
; IeeeMode: 1
; LDSByteSize: 0 bytes/workgroup (compile time only)
; SGPRBlocks: 6
; VGPRBlocks: 2
; NumSGPRsForWavesPerEU: 56
; NumVGPRsForWavesPerEU: 20
; AccumOffset: 20
; Occupancy: 8
; WaveLimiterHint : 1
; COMPUTE_PGM_RSRC2:SCRATCH_EN: 0
; COMPUTE_PGM_RSRC2:USER_SGPR: 6
; COMPUTE_PGM_RSRC2:TRAP_HANDLER: 0
; COMPUTE_PGM_RSRC2:TGID_X_EN: 1
; COMPUTE_PGM_RSRC2:TGID_Y_EN: 0
; COMPUTE_PGM_RSRC2:TGID_Z_EN: 0
; COMPUTE_PGM_RSRC2:TIDIG_COMP_CNT: 0
; COMPUTE_PGM_RSRC3_GFX90A:ACCUM_OFFSET: 4
; COMPUTE_PGM_RSRC3_GFX90A:TG_SPLIT: 0
	.section	.text._ZN9rocsparseL25csrgemm_nnz_block_per_rowILj256ELj16ELj2048ELj79EliEEvPKT4_S3_PKT3_S3_S6_S3_S6_S3_PS4_21rocsparse_index_base_S8_S8_bb,"axG",@progbits,_ZN9rocsparseL25csrgemm_nnz_block_per_rowILj256ELj16ELj2048ELj79EliEEvPKT4_S3_PKT3_S3_S6_S3_S6_S3_PS4_21rocsparse_index_base_S8_S8_bb,comdat
	.globl	_ZN9rocsparseL25csrgemm_nnz_block_per_rowILj256ELj16ELj2048ELj79EliEEvPKT4_S3_PKT3_S3_S6_S3_S6_S3_PS4_21rocsparse_index_base_S8_S8_bb ; -- Begin function _ZN9rocsparseL25csrgemm_nnz_block_per_rowILj256ELj16ELj2048ELj79EliEEvPKT4_S3_PKT3_S3_S6_S3_S6_S3_PS4_21rocsparse_index_base_S8_S8_bb
	.p2align	8
	.type	_ZN9rocsparseL25csrgemm_nnz_block_per_rowILj256ELj16ELj2048ELj79EliEEvPKT4_S3_PKT3_S3_S6_S3_S6_S3_PS4_21rocsparse_index_base_S8_S8_bb,@function
_ZN9rocsparseL25csrgemm_nnz_block_per_rowILj256ELj16ELj2048ELj79EliEEvPKT4_S3_PKT3_S3_S6_S3_S6_S3_PS4_21rocsparse_index_base_S8_S8_bb: ; @_ZN9rocsparseL25csrgemm_nnz_block_per_rowILj256ELj16ELj2048ELj79EliEEvPKT4_S3_PKT3_S3_S6_S3_S6_S3_PS4_21rocsparse_index_base_S8_S8_bb
; %bb.0:
	s_load_dwordx8 s[16:23], s[4:5], 0x0
	s_mov_b32 s1, 0
	v_lshl_add_u32 v1, v0, 2, 0
	v_mov_b32_e32 v2, -1
	s_waitcnt lgkmcnt(0)
	s_load_dword s0, s[16:17], 0x0
	s_load_dwordx2 s[2:3], s[4:5], 0x40
	s_load_dwordx8 s[8:15], s[4:5], 0x20
	s_mov_b64 s[16:17], 0
	s_waitcnt lgkmcnt(0)
	s_add_i32 s0, s0, s6
	s_lshl_b64 s[6:7], s[0:1], 2
	s_add_u32 s6, s18, s6
	s_addc_u32 s7, s19, s7
	s_load_dword s6, s[6:7], 0x0
	s_branch .LBB35_2
.LBB35_1:                               ;   in Loop: Header=BB35_2 Depth=1
	s_or_b64 exec, exec, s[24:25]
	s_add_i32 s1, s1, 2
	v_cmp_eq_u32_e64 s[18:19], 8, s1
	s_or_b64 s[16:17], s[18:19], s[16:17]
	v_add_u32_e32 v1, 0x800, v1
	s_andn2_b64 exec, exec, s[16:17]
	s_cbranch_execz .LBB35_6
.LBB35_2:                               ; =>This Inner Loop Header: Depth=1
	s_or_b32 s0, s1, 1
	v_cmp_le_u32_e64 s[18:19], s0, 7
	v_cmp_le_u32_e64 s[26:27], s1, 7
	s_and_saveexec_b64 s[24:25], s[26:27]
	s_cbranch_execz .LBB35_4
; %bb.3:                                ;   in Loop: Header=BB35_2 Depth=1
	ds_write_b32 v1, v2
.LBB35_4:                               ;   in Loop: Header=BB35_2 Depth=1
	s_or_b64 exec, exec, s[24:25]
	s_and_saveexec_b64 s[24:25], s[18:19]
	s_cbranch_execz .LBB35_1
; %bb.5:                                ;   in Loop: Header=BB35_2 Depth=1
	ds_write_b32 v1, v2 offset:1024
	s_branch .LBB35_1
.LBB35_6:
	s_or_b64 exec, exec, s[16:17]
	s_load_dwordx4 s[16:19], s[4:5], 0x48
	v_and_b32_e32 v8, 15, v0
	v_lshrrev_b32_e32 v1, 4, v0
	v_mov_b32_e32 v9, 0
	s_waitcnt lgkmcnt(0)
	s_bitcmp0_b32 s19, 0
	s_barrier
	s_cbranch_scc1 .LBB35_24
; %bb.7:
	s_ashr_i32 s7, s6, 31
	s_lshl_b64 s[0:1], s[6:7], 3
	s_add_u32 s0, s20, s0
	s_addc_u32 s1, s21, s1
	s_load_dwordx4 s[24:27], s[0:1], 0x0
	v_subrev_co_u32_e32 v2, vcc, s16, v1
	v_subb_co_u32_e64 v3, s[0:1], 0, 0, vcc
	s_waitcnt lgkmcnt(0)
	s_sub_u32 s20, s26, s16
	v_mov_b32_e32 v4, s25
	v_add_co_u32_e32 v2, vcc, s24, v2
	s_subb_u32 s21, s27, 0
	v_addc_co_u32_e32 v3, vcc, v3, v4, vcc
	v_cmp_gt_i64_e32 vcc, s[20:21], v[2:3]
	v_mov_b32_e32 v9, 0
	s_and_saveexec_b64 s[24:25], vcc
	s_cbranch_execz .LBB35_23
; %bb.8:
	s_mov_b32 s19, 0
	v_subrev_co_u32_e32 v10, vcc, s17, v8
	s_mov_b32 s7, s17
	v_subb_co_u32_e64 v11, s[0:1], 0, 0, vcc
	s_mov_b64 s[26:27], 0
	v_mov_b32_e32 v9, 0
	v_mov_b32_e32 v12, s23
	v_mov_b32_e32 v13, s9
	v_mov_b32_e32 v14, s19
	s_movk_i32 s9, 0x4f
	v_mov_b32_e32 v15, -1
	s_branch .LBB35_11
.LBB35_9:                               ;   in Loop: Header=BB35_11 Depth=1
	s_or_b64 exec, exec, s[30:31]
.LBB35_10:                              ;   in Loop: Header=BB35_11 Depth=1
	s_or_b64 exec, exec, s[28:29]
	v_add_co_u32_e32 v2, vcc, 16, v2
	v_addc_co_u32_e32 v3, vcc, 0, v3, vcc
	v_cmp_le_i64_e32 vcc, s[20:21], v[2:3]
	s_or_b64 s[26:27], vcc, s[26:27]
	s_andn2_b64 exec, exec, s[26:27]
	s_cbranch_execz .LBB35_22
.LBB35_11:                              ; =>This Loop Header: Depth=1
                                        ;     Child Loop BB35_14 Depth 2
                                        ;       Child Loop BB35_17 Depth 3
	v_lshlrev_b64 v[4:5], 2, v[2:3]
	v_add_co_u32_e32 v4, vcc, s22, v4
	v_addc_co_u32_e32 v5, vcc, v12, v5, vcc
	global_load_dword v4, v[4:5], off
	s_waitcnt vmcnt(0)
	v_subrev_u32_e32 v4, s16, v4
	v_ashrrev_i32_e32 v5, 31, v4
	v_lshlrev_b64 v[4:5], 3, v[4:5]
	v_add_co_u32_e32 v4, vcc, s8, v4
	v_addc_co_u32_e32 v5, vcc, v13, v5, vcc
	global_load_dwordx4 v[16:19], v[4:5], off
	s_waitcnt vmcnt(0)
	v_subrev_co_u32_e32 v4, vcc, s7, v18
	v_subb_co_u32_e32 v5, vcc, v19, v14, vcc
	v_add_co_u32_e32 v6, vcc, v10, v16
	v_addc_co_u32_e32 v7, vcc, v11, v17, vcc
	v_cmp_lt_i64_e32 vcc, v[6:7], v[4:5]
	s_and_saveexec_b64 s[28:29], vcc
	s_cbranch_execz .LBB35_10
; %bb.12:                               ;   in Loop: Header=BB35_11 Depth=1
	s_mov_b64 s[30:31], 0
	s_branch .LBB35_14
.LBB35_13:                              ;   in Loop: Header=BB35_14 Depth=2
	s_or_b64 exec, exec, s[40:41]
	v_add_co_u32_e32 v6, vcc, 16, v6
	v_addc_co_u32_e32 v7, vcc, 0, v7, vcc
	v_cndmask_b32_e64 v16, 0, 1, s[34:35]
	v_cmp_ge_i64_e32 vcc, v[6:7], v[4:5]
	s_or_b64 s[30:31], vcc, s[30:31]
	v_add_u32_e32 v9, v9, v16
	s_andn2_b64 exec, exec, s[30:31]
	s_cbranch_execz .LBB35_9
.LBB35_14:                              ;   Parent Loop BB35_11 Depth=1
                                        ; =>  This Loop Header: Depth=2
                                        ;       Child Loop BB35_17 Depth 3
	v_lshlrev_b64 v[16:17], 2, v[6:7]
	v_mov_b32_e32 v18, s11
	v_add_co_u32_e32 v16, vcc, s10, v16
	v_addc_co_u32_e32 v17, vcc, v18, v17, vcc
	global_load_dword v16, v[16:17], off
	s_mov_b64 s[40:41], 0
                                        ; implicit-def: $sgpr34_sgpr35
                                        ; implicit-def: $sgpr36_sgpr37
                                        ; implicit-def: $sgpr38_sgpr39
                                        ; implicit-def: $sgpr42_sgpr43
	s_waitcnt vmcnt(0)
	v_subrev_u32_e32 v16, s17, v16
	v_mul_lo_u32 v17, v16, s9
	v_and_b32_e32 v17, 0x7ff, v17
	s_branch .LBB35_17
.LBB35_15:                              ;   in Loop: Header=BB35_17 Depth=3
	s_or_b64 exec, exec, s[48:49]
	s_andn2_b64 s[38:39], s[38:39], exec
	s_and_b64 s[42:43], s[46:47], exec
	s_andn2_b64 s[36:37], s[36:37], exec
	s_and_b64 s[0:1], s[0:1], exec
	s_or_b64 s[38:39], s[38:39], s[42:43]
	s_or_b64 s[36:37], s[36:37], s[0:1]
                                        ; implicit-def: $sgpr42_sgpr43
.LBB35_16:                              ;   in Loop: Header=BB35_17 Depth=3
	s_or_b64 exec, exec, s[44:45]
	s_xor_b64 s[0:1], s[36:37], -1
	s_and_b64 s[0:1], exec, s[0:1]
	s_or_b64 s[40:41], s[0:1], s[40:41]
	s_andn2_b64 s[0:1], s[42:43], exec
	s_and_b64 s[44:45], s[38:39], exec
	s_or_b64 s[42:43], s[0:1], s[44:45]
	s_andn2_b64 s[0:1], s[34:35], exec
	s_or_b64 s[34:35], s[0:1], s[44:45]
	s_andn2_b64 exec, exec, s[40:41]
	s_cbranch_execz .LBB35_13
.LBB35_17:                              ;   Parent Loop BB35_11 Depth=1
                                        ;     Parent Loop BB35_14 Depth=2
                                        ; =>    This Inner Loop Header: Depth=3
	v_lshl_add_u32 v18, v17, 2, 0
	ds_read_b32 v19, v18
	s_andn2_b64 s[38:39], s[38:39], exec
	s_andn2_b64 s[36:37], s[36:37], exec
	s_waitcnt lgkmcnt(0)
	v_cmp_ne_u32_e32 vcc, v19, v16
	s_and_saveexec_b64 s[44:45], vcc
	s_cbranch_execz .LBB35_16
; %bb.18:                               ;   in Loop: Header=BB35_17 Depth=3
	v_cmp_ne_u32_e32 vcc, -1, v19
                                        ; implicit-def: $sgpr46_sgpr47
                                        ; implicit-def: $sgpr0_sgpr1
	s_and_saveexec_b64 s[48:49], vcc
	s_xor_b64 s[48:49], exec, s[48:49]
; %bb.19:                               ;   in Loop: Header=BB35_17 Depth=3
	v_add_u32_e32 v17, 1, v17
	v_and_b32_e32 v17, 0x7ff, v17
	s_mov_b64 s[0:1], -1
	s_and_b64 s[46:47], s[42:43], exec
                                        ; implicit-def: $vgpr18
; %bb.20:                               ;   in Loop: Header=BB35_17 Depth=3
	s_andn2_saveexec_b64 s[48:49], s[48:49]
	s_cbranch_execz .LBB35_15
; %bb.21:                               ;   in Loop: Header=BB35_17 Depth=3
	ds_cmpst_rtn_b32 v18, v18, v15, v16
	s_andn2_b64 s[50:51], s[0:1], exec
	s_andn2_b64 s[46:47], s[46:47], exec
	s_waitcnt lgkmcnt(0)
	v_cmp_eq_u32_e64 s[0:1], -1, v18
	v_cmp_ne_u32_e32 vcc, -1, v18
	s_or_b64 s[42:43], s[0:1], s[42:43]
	s_and_b64 s[0:1], vcc, exec
	s_and_b64 s[42:43], s[42:43], exec
	s_or_b64 s[0:1], s[50:51], s[0:1]
	s_or_b64 s[46:47], s[46:47], s[42:43]
	s_branch .LBB35_15
.LBB35_22:
	s_or_b64 exec, exec, s[26:27]
.LBB35_23:
	s_or_b64 exec, exec, s[24:25]
.LBB35_24:
	s_load_dword s0, s[4:5], 0x54
	s_waitcnt lgkmcnt(0)
	s_bfe_u32 s0, s0, 0x10008
	s_cmp_eq_u32 s0, 0
	s_cbranch_scc1 .LBB35_38
; %bb.25:
	s_ashr_i32 s7, s6, 31
	s_lshl_b64 s[0:1], s[6:7], 3
	s_add_u32 s0, s12, s0
	s_addc_u32 s1, s13, s1
	s_load_dwordx4 s[8:11], s[0:1], 0x0
	v_subrev_co_u32_e32 v2, vcc, s18, v1
	v_subb_co_u32_e64 v3, s[0:1], 0, 0, vcc
	s_waitcnt lgkmcnt(0)
	s_sub_u32 s4, s10, s18
	v_mov_b32_e32 v4, s9
	v_add_co_u32_e32 v2, vcc, s8, v2
	s_subb_u32 s5, s11, 0
	v_addc_co_u32_e32 v3, vcc, v3, v4, vcc
	v_cmp_gt_i64_e32 vcc, s[4:5], v[2:3]
	s_and_saveexec_b64 s[8:9], vcc
	s_cbranch_execz .LBB35_37
; %bb.26:
	s_mov_b64 s[10:11], 0
	v_mov_b32_e32 v4, s15
	s_movk_i32 s7, 0x4f
	v_mov_b32_e32 v5, -1
	s_branch .LBB35_28
.LBB35_27:                              ;   in Loop: Header=BB35_28 Depth=1
	s_or_b64 exec, exec, s[22:23]
	v_add_co_u32_e32 v2, vcc, 16, v2
	v_addc_co_u32_e32 v3, vcc, 0, v3, vcc
	v_cndmask_b32_e64 v6, 0, 1, s[12:13]
	v_cmp_le_i64_e32 vcc, s[4:5], v[2:3]
	s_or_b64 s[10:11], vcc, s[10:11]
	v_add_u32_e32 v9, v9, v6
	s_andn2_b64 exec, exec, s[10:11]
	s_cbranch_execz .LBB35_36
.LBB35_28:                              ; =>This Loop Header: Depth=1
                                        ;     Child Loop BB35_31 Depth 2
	v_lshlrev_b64 v[6:7], 2, v[2:3]
	v_add_co_u32_e32 v6, vcc, s14, v6
	v_addc_co_u32_e32 v7, vcc, v4, v7, vcc
	global_load_dword v6, v[6:7], off
	s_mov_b64 s[22:23], 0
                                        ; implicit-def: $sgpr12_sgpr13
                                        ; implicit-def: $sgpr16_sgpr17
                                        ; implicit-def: $sgpr20_sgpr21
                                        ; implicit-def: $sgpr24_sgpr25
	s_waitcnt vmcnt(0)
	v_subrev_u32_e32 v6, s18, v6
	v_mul_lo_u32 v7, v6, s7
	v_and_b32_e32 v7, 0x7ff, v7
	s_branch .LBB35_31
.LBB35_29:                              ;   in Loop: Header=BB35_31 Depth=2
	s_or_b64 exec, exec, s[30:31]
	s_andn2_b64 s[20:21], s[20:21], exec
	s_and_b64 s[24:25], s[28:29], exec
	s_andn2_b64 s[16:17], s[16:17], exec
	s_and_b64 s[0:1], s[0:1], exec
	s_or_b64 s[20:21], s[20:21], s[24:25]
	s_or_b64 s[16:17], s[16:17], s[0:1]
                                        ; implicit-def: $sgpr24_sgpr25
.LBB35_30:                              ;   in Loop: Header=BB35_31 Depth=2
	s_or_b64 exec, exec, s[26:27]
	s_xor_b64 s[0:1], s[16:17], -1
	s_and_b64 s[0:1], exec, s[0:1]
	s_or_b64 s[22:23], s[0:1], s[22:23]
	s_andn2_b64 s[0:1], s[24:25], exec
	s_and_b64 s[26:27], s[20:21], exec
	s_or_b64 s[24:25], s[0:1], s[26:27]
	s_andn2_b64 s[0:1], s[12:13], exec
	s_or_b64 s[12:13], s[0:1], s[26:27]
	s_andn2_b64 exec, exec, s[22:23]
	s_cbranch_execz .LBB35_27
.LBB35_31:                              ;   Parent Loop BB35_28 Depth=1
                                        ; =>  This Inner Loop Header: Depth=2
	v_lshl_add_u32 v10, v7, 2, 0
	ds_read_b32 v11, v10
	s_andn2_b64 s[20:21], s[20:21], exec
	s_andn2_b64 s[16:17], s[16:17], exec
	s_waitcnt lgkmcnt(0)
	v_cmp_ne_u32_e32 vcc, v11, v6
	s_and_saveexec_b64 s[26:27], vcc
	s_cbranch_execz .LBB35_30
; %bb.32:                               ;   in Loop: Header=BB35_31 Depth=2
	v_cmp_ne_u32_e32 vcc, -1, v11
                                        ; implicit-def: $sgpr28_sgpr29
                                        ; implicit-def: $sgpr0_sgpr1
	s_and_saveexec_b64 s[30:31], vcc
	s_xor_b64 s[30:31], exec, s[30:31]
; %bb.33:                               ;   in Loop: Header=BB35_31 Depth=2
	v_add_u32_e32 v7, 1, v7
	v_and_b32_e32 v7, 0x7ff, v7
	s_mov_b64 s[0:1], -1
	s_and_b64 s[28:29], s[24:25], exec
                                        ; implicit-def: $vgpr10
; %bb.34:                               ;   in Loop: Header=BB35_31 Depth=2
	s_andn2_saveexec_b64 s[30:31], s[30:31]
	s_cbranch_execz .LBB35_29
; %bb.35:                               ;   in Loop: Header=BB35_31 Depth=2
	ds_cmpst_rtn_b32 v10, v10, v5, v6
	s_andn2_b64 s[34:35], s[0:1], exec
	s_andn2_b64 s[28:29], s[28:29], exec
	s_waitcnt lgkmcnt(0)
	v_cmp_eq_u32_e64 s[0:1], -1, v10
	v_cmp_ne_u32_e32 vcc, -1, v10
	s_or_b64 s[24:25], s[0:1], s[24:25]
	s_and_b64 s[0:1], vcc, exec
	s_and_b64 s[24:25], s[24:25], exec
	s_or_b64 s[0:1], s[34:35], s[0:1]
	s_or_b64 s[28:29], s[28:29], s[24:25]
	s_branch .LBB35_29
.LBB35_36:
	s_or_b64 exec, exec, s[10:11]
.LBB35_37:
	s_or_b64 exec, exec, s[8:9]
.LBB35_38:
	v_mov_b32_dpp v2, v9 row_shr:1 row_mask:0xf bank_mask:0xf
	v_add_u32_e32 v2, v2, v9
	v_cmp_eq_u32_e32 vcc, 15, v8
	s_nop 0
	v_mov_b32_dpp v3, v2 row_shr:2 row_mask:0xf bank_mask:0xf
	v_add_u32_e32 v2, v2, v3
	s_barrier
	s_nop 0
	v_mov_b32_dpp v3, v2 row_shr:4 row_mask:0xf bank_mask:0xe
	v_add_u32_e32 v2, v2, v3
	s_nop 1
	v_mov_b32_dpp v3, v2 row_shr:8 row_mask:0xf bank_mask:0xc
	s_and_saveexec_b64 s[0:1], vcc
	s_cbranch_execz .LBB35_40
; %bb.39:
	v_lshl_add_u32 v1, v1, 2, 0
	v_add_u32_e32 v2, v2, v3
	ds_write_b32 v1, v2
.LBB35_40:
	s_or_b64 exec, exec, s[0:1]
	v_cmp_gt_u32_e32 vcc, 16, v0
	v_mov_b32_e32 v1, 0
	s_waitcnt lgkmcnt(0)
	s_barrier
	s_and_saveexec_b64 s[0:1], vcc
	s_cbranch_execz .LBB35_42
; %bb.41:
	v_lshl_add_u32 v1, v0, 2, 0
	ds_read_b32 v1, v1
.LBB35_42:
	s_or_b64 exec, exec, s[0:1]
	s_waitcnt lgkmcnt(0)
	v_mov_b32_dpp v2, v1 row_shr:1 row_mask:0xf bank_mask:0xf
	v_add_u32_e32 v1, v2, v1
	v_cmp_eq_u32_e32 vcc, 15, v0
	s_nop 0
	v_mov_b32_dpp v2, v1 row_shr:2 row_mask:0xf bank_mask:0xf
	v_add_u32_e32 v1, v1, v2
	s_nop 1
	v_mov_b32_dpp v2, v1 row_shr:4 row_mask:0xf bank_mask:0xe
	v_add_u32_e32 v1, v1, v2
	s_nop 1
	v_mov_b32_dpp v2, v1 row_shr:8 row_mask:0xf bank_mask:0xc
	s_and_saveexec_b64 s[0:1], vcc
	s_cbranch_execz .LBB35_44
; %bb.43:
	s_ashr_i32 s7, s6, 31
	s_lshl_b64 s[0:1], s[6:7], 3
	s_add_u32 s0, s2, s0
	v_add_u32_e32 v0, v1, v2
	s_addc_u32 s1, s3, s1
	v_mov_b32_e32 v3, 0
	v_ashrrev_i32_e32 v1, 31, v0
	global_store_dwordx2 v3, v[0:1], s[0:1]
.LBB35_44:
	s_endpgm
	.section	.rodata,"a",@progbits
	.p2align	6, 0x0
	.amdhsa_kernel _ZN9rocsparseL25csrgemm_nnz_block_per_rowILj256ELj16ELj2048ELj79EliEEvPKT4_S3_PKT3_S3_S6_S3_S6_S3_PS4_21rocsparse_index_base_S8_S8_bb
		.amdhsa_group_segment_fixed_size 0
		.amdhsa_private_segment_fixed_size 0
		.amdhsa_kernarg_size 88
		.amdhsa_user_sgpr_count 6
		.amdhsa_user_sgpr_private_segment_buffer 1
		.amdhsa_user_sgpr_dispatch_ptr 0
		.amdhsa_user_sgpr_queue_ptr 0
		.amdhsa_user_sgpr_kernarg_segment_ptr 1
		.amdhsa_user_sgpr_dispatch_id 0
		.amdhsa_user_sgpr_flat_scratch_init 0
		.amdhsa_user_sgpr_kernarg_preload_length 0
		.amdhsa_user_sgpr_kernarg_preload_offset 0
		.amdhsa_user_sgpr_private_segment_size 0
		.amdhsa_uses_dynamic_stack 0
		.amdhsa_system_sgpr_private_segment_wavefront_offset 0
		.amdhsa_system_sgpr_workgroup_id_x 1
		.amdhsa_system_sgpr_workgroup_id_y 0
		.amdhsa_system_sgpr_workgroup_id_z 0
		.amdhsa_system_sgpr_workgroup_info 0
		.amdhsa_system_vgpr_workitem_id 0
		.amdhsa_next_free_vgpr 20
		.amdhsa_next_free_sgpr 52
		.amdhsa_accum_offset 20
		.amdhsa_reserve_vcc 1
		.amdhsa_reserve_flat_scratch 0
		.amdhsa_float_round_mode_32 0
		.amdhsa_float_round_mode_16_64 0
		.amdhsa_float_denorm_mode_32 3
		.amdhsa_float_denorm_mode_16_64 3
		.amdhsa_dx10_clamp 1
		.amdhsa_ieee_mode 1
		.amdhsa_fp16_overflow 0
		.amdhsa_tg_split 0
		.amdhsa_exception_fp_ieee_invalid_op 0
		.amdhsa_exception_fp_denorm_src 0
		.amdhsa_exception_fp_ieee_div_zero 0
		.amdhsa_exception_fp_ieee_overflow 0
		.amdhsa_exception_fp_ieee_underflow 0
		.amdhsa_exception_fp_ieee_inexact 0
		.amdhsa_exception_int_div_zero 0
	.end_amdhsa_kernel
	.section	.text._ZN9rocsparseL25csrgemm_nnz_block_per_rowILj256ELj16ELj2048ELj79EliEEvPKT4_S3_PKT3_S3_S6_S3_S6_S3_PS4_21rocsparse_index_base_S8_S8_bb,"axG",@progbits,_ZN9rocsparseL25csrgemm_nnz_block_per_rowILj256ELj16ELj2048ELj79EliEEvPKT4_S3_PKT3_S3_S6_S3_S6_S3_PS4_21rocsparse_index_base_S8_S8_bb,comdat
.Lfunc_end35:
	.size	_ZN9rocsparseL25csrgemm_nnz_block_per_rowILj256ELj16ELj2048ELj79EliEEvPKT4_S3_PKT3_S3_S6_S3_S6_S3_PS4_21rocsparse_index_base_S8_S8_bb, .Lfunc_end35-_ZN9rocsparseL25csrgemm_nnz_block_per_rowILj256ELj16ELj2048ELj79EliEEvPKT4_S3_PKT3_S3_S6_S3_S6_S3_PS4_21rocsparse_index_base_S8_S8_bb
                                        ; -- End function
	.section	.AMDGPU.csdata,"",@progbits
; Kernel info:
; codeLenInByte = 1484
; NumSgprs: 56
; NumVgprs: 20
; NumAgprs: 0
; TotalNumVgprs: 20
; ScratchSize: 0
; MemoryBound: 0
; FloatMode: 240
; IeeeMode: 1
; LDSByteSize: 0 bytes/workgroup (compile time only)
; SGPRBlocks: 6
; VGPRBlocks: 2
; NumSGPRsForWavesPerEU: 56
; NumVGPRsForWavesPerEU: 20
; AccumOffset: 20
; Occupancy: 8
; WaveLimiterHint : 1
; COMPUTE_PGM_RSRC2:SCRATCH_EN: 0
; COMPUTE_PGM_RSRC2:USER_SGPR: 6
; COMPUTE_PGM_RSRC2:TRAP_HANDLER: 0
; COMPUTE_PGM_RSRC2:TGID_X_EN: 1
; COMPUTE_PGM_RSRC2:TGID_Y_EN: 0
; COMPUTE_PGM_RSRC2:TGID_Z_EN: 0
; COMPUTE_PGM_RSRC2:TIDIG_COMP_CNT: 0
; COMPUTE_PGM_RSRC3_GFX90A:ACCUM_OFFSET: 4
; COMPUTE_PGM_RSRC3_GFX90A:TG_SPLIT: 0
	.section	.text._ZN9rocsparseL25csrgemm_nnz_block_per_rowILj512ELj16ELj4096ELj79EliEEvPKT4_S3_PKT3_S3_S6_S3_S6_S3_PS4_21rocsparse_index_base_S8_S8_bb,"axG",@progbits,_ZN9rocsparseL25csrgemm_nnz_block_per_rowILj512ELj16ELj4096ELj79EliEEvPKT4_S3_PKT3_S3_S6_S3_S6_S3_PS4_21rocsparse_index_base_S8_S8_bb,comdat
	.globl	_ZN9rocsparseL25csrgemm_nnz_block_per_rowILj512ELj16ELj4096ELj79EliEEvPKT4_S3_PKT3_S3_S6_S3_S6_S3_PS4_21rocsparse_index_base_S8_S8_bb ; -- Begin function _ZN9rocsparseL25csrgemm_nnz_block_per_rowILj512ELj16ELj4096ELj79EliEEvPKT4_S3_PKT3_S3_S6_S3_S6_S3_PS4_21rocsparse_index_base_S8_S8_bb
	.p2align	8
	.type	_ZN9rocsparseL25csrgemm_nnz_block_per_rowILj512ELj16ELj4096ELj79EliEEvPKT4_S3_PKT3_S3_S6_S3_S6_S3_PS4_21rocsparse_index_base_S8_S8_bb,@function
_ZN9rocsparseL25csrgemm_nnz_block_per_rowILj512ELj16ELj4096ELj79EliEEvPKT4_S3_PKT3_S3_S6_S3_S6_S3_PS4_21rocsparse_index_base_S8_S8_bb: ; @_ZN9rocsparseL25csrgemm_nnz_block_per_rowILj512ELj16ELj4096ELj79EliEEvPKT4_S3_PKT3_S3_S6_S3_S6_S3_PS4_21rocsparse_index_base_S8_S8_bb
; %bb.0:
	s_load_dwordx4 s[0:3], s[4:5], 0x0
	v_lshl_add_u32 v1, v0, 2, 0
	v_mov_b32_e32 v2, -1
	s_waitcnt lgkmcnt(0)
	s_load_dword s0, s[0:1], 0x0
	s_mov_b32 s1, 0
	s_waitcnt lgkmcnt(0)
	s_add_i32 s0, s0, s6
	s_lshl_b64 s[0:1], s[0:1], 2
	s_add_u32 s0, s2, s0
	s_addc_u32 s1, s3, s1
	s_load_dword s2, s[0:1], 0x0
	s_mov_b64 s[0:1], -1
	ds_write2st64_b32 v1, v2, v2 offset1:8
	ds_write2st64_b32 v1, v2, v2 offset0:16 offset1:24
	s_and_saveexec_b64 s[6:7], s[0:1]
	s_cbranch_execz .LBB36_2
; %bb.1:
	ds_write_b32 v1, v2 offset:8192
.LBB36_2:
	s_or_b64 exec, exec, s[6:7]
	s_and_saveexec_b64 s[6:7], s[0:1]
	s_cbranch_execz .LBB36_4
; %bb.3:
	v_mov_b32_e32 v2, -1
	ds_write_b32 v1, v2 offset:10240
.LBB36_4:
	s_or_b64 exec, exec, s[6:7]
	v_cmp_gt_u32_e64 s[0:1], 7, 6
	v_cmp_gt_u32_e64 s[8:9], 7, 5
	s_and_saveexec_b64 s[6:7], s[8:9]
	s_cbranch_execz .LBB36_6
; %bb.5:
	v_mov_b32_e32 v2, -1
	ds_write_b32 v1, v2 offset:12288
.LBB36_6:
	s_or_b64 exec, exec, s[6:7]
	s_and_saveexec_b64 s[6:7], s[0:1]
	s_cbranch_execz .LBB36_8
; %bb.7:
	v_mov_b32_e32 v2, -1
	ds_write_b32 v1, v2 offset:14336
.LBB36_8:
	s_or_b64 exec, exec, s[6:7]
	s_load_dwordx4 s[8:11], s[4:5], 0x48
	v_and_b32_e32 v9, 15, v0
	v_lshrrev_b32_e32 v8, 4, v0
	v_mov_b32_e32 v10, 0
	s_waitcnt lgkmcnt(0)
	s_bitcmp0_b32 s11, 0
	s_barrier
	s_cbranch_scc1 .LBB36_26
; %bb.9:
	s_load_dwordx2 s[0:1], s[4:5], 0x10
	s_ashr_i32 s3, s2, 31
	s_lshl_b64 s[6:7], s[2:3], 3
	v_subrev_co_u32_e32 v2, vcc, s8, v8
	s_waitcnt lgkmcnt(0)
	s_add_u32 s0, s0, s6
	s_addc_u32 s1, s1, s7
	s_load_dwordx4 s[12:15], s[0:1], 0x0
	v_subb_co_u32_e64 v3, s[0:1], 0, 0, vcc
	v_mov_b32_e32 v10, 0
	s_waitcnt lgkmcnt(0)
	s_sub_u32 s6, s14, s8
	v_mov_b32_e32 v4, s13
	v_add_co_u32_e32 v2, vcc, s12, v2
	s_subb_u32 s7, s15, 0
	v_addc_co_u32_e32 v3, vcc, v3, v4, vcc
	v_cmp_gt_i64_e32 vcc, s[6:7], v[2:3]
	s_and_saveexec_b64 s[16:17], vcc
	s_cbranch_execz .LBB36_25
; %bb.10:
	s_load_dwordx4 s[12:15], s[4:5], 0x18
	s_load_dwordx2 s[18:19], s[4:5], 0x28
	s_mov_b32 s11, 0
	v_subrev_co_u32_e32 v11, vcc, s9, v9
	s_mov_b32 s3, s9
	v_subb_co_u32_e64 v12, s[0:1], 0, 0, vcc
	s_mov_b64 s[20:21], 0
	v_mov_b32_e32 v10, 0
	s_waitcnt lgkmcnt(0)
	v_mov_b32_e32 v13, s13
	v_mov_b32_e32 v14, s15
	;; [unrolled: 1-line block ×3, first 2 shown]
	s_movk_i32 s11, 0x4f
	v_mov_b32_e32 v16, -1
	s_branch .LBB36_13
.LBB36_11:                              ;   in Loop: Header=BB36_13 Depth=1
	s_or_b64 exec, exec, s[24:25]
.LBB36_12:                              ;   in Loop: Header=BB36_13 Depth=1
	s_or_b64 exec, exec, s[22:23]
	v_add_co_u32_e32 v2, vcc, 32, v2
	v_addc_co_u32_e32 v3, vcc, 0, v3, vcc
	v_cmp_le_i64_e32 vcc, s[6:7], v[2:3]
	s_or_b64 s[20:21], vcc, s[20:21]
	s_andn2_b64 exec, exec, s[20:21]
	s_cbranch_execz .LBB36_24
.LBB36_13:                              ; =>This Loop Header: Depth=1
                                        ;     Child Loop BB36_16 Depth 2
                                        ;       Child Loop BB36_19 Depth 3
	v_lshlrev_b64 v[4:5], 2, v[2:3]
	v_add_co_u32_e32 v4, vcc, s12, v4
	v_addc_co_u32_e32 v5, vcc, v13, v5, vcc
	global_load_dword v4, v[4:5], off
	s_waitcnt vmcnt(0)
	v_subrev_u32_e32 v4, s8, v4
	v_ashrrev_i32_e32 v5, 31, v4
	v_lshlrev_b64 v[4:5], 3, v[4:5]
	v_add_co_u32_e32 v4, vcc, s14, v4
	v_addc_co_u32_e32 v5, vcc, v14, v5, vcc
	global_load_dwordx4 v[18:21], v[4:5], off
	s_waitcnt vmcnt(0)
	v_subrev_co_u32_e32 v4, vcc, s3, v20
	v_subb_co_u32_e32 v5, vcc, v21, v15, vcc
	v_add_co_u32_e32 v6, vcc, v11, v18
	v_addc_co_u32_e32 v7, vcc, v12, v19, vcc
	v_cmp_lt_i64_e32 vcc, v[6:7], v[4:5]
	s_and_saveexec_b64 s[22:23], vcc
	s_cbranch_execz .LBB36_12
; %bb.14:                               ;   in Loop: Header=BB36_13 Depth=1
	s_mov_b64 s[24:25], 0
	s_branch .LBB36_16
.LBB36_15:                              ;   in Loop: Header=BB36_16 Depth=2
	s_or_b64 exec, exec, s[34:35]
	v_add_co_u32_e32 v6, vcc, 16, v6
	v_addc_co_u32_e32 v7, vcc, 0, v7, vcc
	v_cndmask_b32_e64 v17, 0, 1, s[26:27]
	v_cmp_ge_i64_e32 vcc, v[6:7], v[4:5]
	s_or_b64 s[24:25], vcc, s[24:25]
	v_add_u32_e32 v10, v10, v17
	s_andn2_b64 exec, exec, s[24:25]
	s_cbranch_execz .LBB36_11
.LBB36_16:                              ;   Parent Loop BB36_13 Depth=1
                                        ; =>  This Loop Header: Depth=2
                                        ;       Child Loop BB36_19 Depth 3
	v_lshlrev_b64 v[18:19], 2, v[6:7]
	v_mov_b32_e32 v17, s19
	v_add_co_u32_e32 v18, vcc, s18, v18
	v_addc_co_u32_e32 v19, vcc, v17, v19, vcc
	global_load_dword v17, v[18:19], off
	s_mov_b64 s[34:35], 0
                                        ; implicit-def: $sgpr26_sgpr27
                                        ; implicit-def: $sgpr28_sgpr29
                                        ; implicit-def: $sgpr30_sgpr31
                                        ; implicit-def: $sgpr36_sgpr37
	s_waitcnt vmcnt(0)
	v_subrev_u32_e32 v17, s9, v17
	v_mul_lo_u32 v18, v17, s11
	v_and_b32_e32 v18, 0xfff, v18
	s_branch .LBB36_19
.LBB36_17:                              ;   in Loop: Header=BB36_19 Depth=3
	s_or_b64 exec, exec, s[42:43]
	s_andn2_b64 s[30:31], s[30:31], exec
	s_and_b64 s[36:37], s[40:41], exec
	s_andn2_b64 s[28:29], s[28:29], exec
	s_and_b64 s[0:1], s[0:1], exec
	s_or_b64 s[30:31], s[30:31], s[36:37]
	s_or_b64 s[28:29], s[28:29], s[0:1]
                                        ; implicit-def: $sgpr36_sgpr37
.LBB36_18:                              ;   in Loop: Header=BB36_19 Depth=3
	s_or_b64 exec, exec, s[38:39]
	s_xor_b64 s[0:1], s[28:29], -1
	s_and_b64 s[0:1], exec, s[0:1]
	s_or_b64 s[34:35], s[0:1], s[34:35]
	s_andn2_b64 s[0:1], s[36:37], exec
	s_and_b64 s[38:39], s[30:31], exec
	s_or_b64 s[36:37], s[0:1], s[38:39]
	s_andn2_b64 s[0:1], s[26:27], exec
	s_or_b64 s[26:27], s[0:1], s[38:39]
	s_andn2_b64 exec, exec, s[34:35]
	s_cbranch_execz .LBB36_15
.LBB36_19:                              ;   Parent Loop BB36_13 Depth=1
                                        ;     Parent Loop BB36_16 Depth=2
                                        ; =>    This Inner Loop Header: Depth=3
	v_lshl_add_u32 v19, v18, 2, 0
	ds_read_b32 v20, v19
	s_andn2_b64 s[30:31], s[30:31], exec
	s_andn2_b64 s[28:29], s[28:29], exec
	s_waitcnt lgkmcnt(0)
	v_cmp_ne_u32_e32 vcc, v20, v17
	s_and_saveexec_b64 s[38:39], vcc
	s_cbranch_execz .LBB36_18
; %bb.20:                               ;   in Loop: Header=BB36_19 Depth=3
	v_cmp_ne_u32_e32 vcc, -1, v20
                                        ; implicit-def: $sgpr40_sgpr41
                                        ; implicit-def: $sgpr0_sgpr1
	s_and_saveexec_b64 s[42:43], vcc
	s_xor_b64 s[42:43], exec, s[42:43]
; %bb.21:                               ;   in Loop: Header=BB36_19 Depth=3
	v_add_u32_e32 v18, 1, v18
	v_and_b32_e32 v18, 0xfff, v18
	s_mov_b64 s[0:1], -1
	s_and_b64 s[40:41], s[36:37], exec
                                        ; implicit-def: $vgpr19
; %bb.22:                               ;   in Loop: Header=BB36_19 Depth=3
	s_andn2_saveexec_b64 s[42:43], s[42:43]
	s_cbranch_execz .LBB36_17
; %bb.23:                               ;   in Loop: Header=BB36_19 Depth=3
	ds_cmpst_rtn_b32 v19, v19, v16, v17
	s_andn2_b64 s[44:45], s[0:1], exec
	s_andn2_b64 s[40:41], s[40:41], exec
	s_waitcnt lgkmcnt(0)
	v_cmp_eq_u32_e64 s[0:1], -1, v19
	v_cmp_ne_u32_e32 vcc, -1, v19
	s_or_b64 s[36:37], s[0:1], s[36:37]
	s_and_b64 s[0:1], vcc, exec
	s_and_b64 s[36:37], s[36:37], exec
	s_or_b64 s[0:1], s[44:45], s[0:1]
	s_or_b64 s[40:41], s[40:41], s[36:37]
	s_branch .LBB36_17
.LBB36_24:
	s_or_b64 exec, exec, s[20:21]
.LBB36_25:
	s_or_b64 exec, exec, s[16:17]
.LBB36_26:
	s_load_dword s0, s[4:5], 0x54
	s_waitcnt lgkmcnt(0)
	s_bfe_u32 s0, s0, 0x10008
	s_cmp_eq_u32 s0, 0
	s_cbranch_scc1 .LBB36_40
; %bb.27:
	s_load_dwordx2 s[0:1], s[4:5], 0x30
	s_ashr_i32 s3, s2, 31
	s_lshl_b64 s[6:7], s[2:3], 3
	v_subrev_co_u32_e32 v2, vcc, s10, v8
	s_waitcnt lgkmcnt(0)
	s_add_u32 s0, s0, s6
	s_addc_u32 s1, s1, s7
	s_load_dwordx4 s[12:15], s[0:1], 0x0
	v_subb_co_u32_e64 v3, s[0:1], 0, 0, vcc
	s_waitcnt lgkmcnt(0)
	s_sub_u32 s6, s14, s10
	v_mov_b32_e32 v4, s13
	v_add_co_u32_e32 v2, vcc, s12, v2
	s_subb_u32 s7, s15, 0
	v_addc_co_u32_e32 v3, vcc, v3, v4, vcc
	v_cmp_gt_i64_e32 vcc, s[6:7], v[2:3]
	s_and_saveexec_b64 s[8:9], vcc
	s_cbranch_execz .LBB36_39
; %bb.28:
	s_load_dwordx2 s[12:13], s[4:5], 0x38
	s_mov_b64 s[14:15], 0
	s_movk_i32 s3, 0x4f
	v_mov_b32_e32 v5, -1
	s_waitcnt lgkmcnt(0)
	v_mov_b32_e32 v4, s13
	s_branch .LBB36_30
.LBB36_29:                              ;   in Loop: Header=BB36_30 Depth=1
	s_or_b64 exec, exec, s[22:23]
	v_add_co_u32_e32 v2, vcc, 32, v2
	v_addc_co_u32_e32 v3, vcc, 0, v3, vcc
	v_cndmask_b32_e64 v6, 0, 1, s[16:17]
	v_cmp_le_i64_e32 vcc, s[6:7], v[2:3]
	s_or_b64 s[14:15], vcc, s[14:15]
	v_add_u32_e32 v10, v10, v6
	s_andn2_b64 exec, exec, s[14:15]
	s_cbranch_execz .LBB36_38
.LBB36_30:                              ; =>This Loop Header: Depth=1
                                        ;     Child Loop BB36_33 Depth 2
	v_lshlrev_b64 v[6:7], 2, v[2:3]
	v_add_co_u32_e32 v6, vcc, s12, v6
	v_addc_co_u32_e32 v7, vcc, v4, v7, vcc
	global_load_dword v6, v[6:7], off
	s_mov_b64 s[22:23], 0
                                        ; implicit-def: $sgpr16_sgpr17
                                        ; implicit-def: $sgpr18_sgpr19
                                        ; implicit-def: $sgpr20_sgpr21
                                        ; implicit-def: $sgpr24_sgpr25
	s_waitcnt vmcnt(0)
	v_subrev_u32_e32 v6, s10, v6
	v_mul_lo_u32 v7, v6, s3
	v_and_b32_e32 v7, 0xfff, v7
	s_branch .LBB36_33
.LBB36_31:                              ;   in Loop: Header=BB36_33 Depth=2
	s_or_b64 exec, exec, s[30:31]
	s_andn2_b64 s[20:21], s[20:21], exec
	s_and_b64 s[24:25], s[28:29], exec
	s_andn2_b64 s[18:19], s[18:19], exec
	s_and_b64 s[0:1], s[0:1], exec
	s_or_b64 s[20:21], s[20:21], s[24:25]
	s_or_b64 s[18:19], s[18:19], s[0:1]
                                        ; implicit-def: $sgpr24_sgpr25
.LBB36_32:                              ;   in Loop: Header=BB36_33 Depth=2
	s_or_b64 exec, exec, s[26:27]
	s_xor_b64 s[0:1], s[18:19], -1
	s_and_b64 s[0:1], exec, s[0:1]
	s_or_b64 s[22:23], s[0:1], s[22:23]
	s_andn2_b64 s[0:1], s[24:25], exec
	s_and_b64 s[26:27], s[20:21], exec
	s_or_b64 s[24:25], s[0:1], s[26:27]
	s_andn2_b64 s[0:1], s[16:17], exec
	s_or_b64 s[16:17], s[0:1], s[26:27]
	s_andn2_b64 exec, exec, s[22:23]
	s_cbranch_execz .LBB36_29
.LBB36_33:                              ;   Parent Loop BB36_30 Depth=1
                                        ; =>  This Inner Loop Header: Depth=2
	v_lshl_add_u32 v11, v7, 2, 0
	ds_read_b32 v12, v11
	s_andn2_b64 s[20:21], s[20:21], exec
	s_andn2_b64 s[18:19], s[18:19], exec
	s_waitcnt lgkmcnt(0)
	v_cmp_ne_u32_e32 vcc, v12, v6
	s_and_saveexec_b64 s[26:27], vcc
	s_cbranch_execz .LBB36_32
; %bb.34:                               ;   in Loop: Header=BB36_33 Depth=2
	v_cmp_ne_u32_e32 vcc, -1, v12
                                        ; implicit-def: $sgpr28_sgpr29
                                        ; implicit-def: $sgpr0_sgpr1
	s_and_saveexec_b64 s[30:31], vcc
	s_xor_b64 s[30:31], exec, s[30:31]
; %bb.35:                               ;   in Loop: Header=BB36_33 Depth=2
	v_add_u32_e32 v7, 1, v7
	v_and_b32_e32 v7, 0xfff, v7
	s_mov_b64 s[0:1], -1
	s_and_b64 s[28:29], s[24:25], exec
                                        ; implicit-def: $vgpr11
; %bb.36:                               ;   in Loop: Header=BB36_33 Depth=2
	s_andn2_saveexec_b64 s[30:31], s[30:31]
	s_cbranch_execz .LBB36_31
; %bb.37:                               ;   in Loop: Header=BB36_33 Depth=2
	ds_cmpst_rtn_b32 v11, v11, v5, v6
	s_andn2_b64 s[34:35], s[0:1], exec
	s_andn2_b64 s[28:29], s[28:29], exec
	s_waitcnt lgkmcnt(0)
	v_cmp_eq_u32_e64 s[0:1], -1, v11
	v_cmp_ne_u32_e32 vcc, -1, v11
	s_or_b64 s[24:25], s[0:1], s[24:25]
	s_and_b64 s[0:1], vcc, exec
	s_and_b64 s[24:25], s[24:25], exec
	s_or_b64 s[0:1], s[34:35], s[0:1]
	s_or_b64 s[28:29], s[28:29], s[24:25]
	s_branch .LBB36_31
.LBB36_38:
	s_or_b64 exec, exec, s[14:15]
.LBB36_39:
	s_or_b64 exec, exec, s[8:9]
.LBB36_40:
	v_mov_b32_dpp v2, v10 row_shr:1 row_mask:0xf bank_mask:0xf
	v_add_u32_e32 v2, v2, v10
	v_cmp_eq_u32_e32 vcc, 15, v9
	s_nop 0
	v_mov_b32_dpp v3, v2 row_shr:2 row_mask:0xf bank_mask:0xf
	v_add_u32_e32 v2, v2, v3
	s_barrier
	s_nop 0
	v_mov_b32_dpp v3, v2 row_shr:4 row_mask:0xf bank_mask:0xe
	v_add_u32_e32 v2, v2, v3
	s_nop 1
	v_mov_b32_dpp v3, v2 row_shr:8 row_mask:0xf bank_mask:0xc
	s_and_saveexec_b64 s[0:1], vcc
	s_cbranch_execz .LBB36_42
; %bb.41:
	v_lshl_add_u32 v4, v8, 2, 0
	v_add_u32_e32 v2, v2, v3
	ds_write_b32 v4, v2
.LBB36_42:
	s_or_b64 exec, exec, s[0:1]
	v_cmp_gt_u32_e32 vcc, 32, v0
	v_mov_b32_e32 v2, 0
	s_waitcnt lgkmcnt(0)
	s_barrier
	s_and_saveexec_b64 s[0:1], vcc
	s_cbranch_execz .LBB36_44
; %bb.43:
	ds_read_b32 v2, v1
.LBB36_44:
	s_or_b64 exec, exec, s[0:1]
	s_waitcnt lgkmcnt(0)
	v_mov_b32_dpp v1, v2 row_shr:1 row_mask:0xf bank_mask:0xf
	v_add_u32_e32 v1, v1, v2
	v_cmp_eq_u32_e32 vcc, 31, v0
	s_nop 0
	v_mov_b32_dpp v2, v1 row_shr:2 row_mask:0xf bank_mask:0xf
	v_add_u32_e32 v1, v1, v2
	s_nop 1
	v_mov_b32_dpp v2, v1 row_shr:4 row_mask:0xf bank_mask:0xe
	v_add_u32_e32 v1, v1, v2
	;; [unrolled: 3-line block ×3, first 2 shown]
	s_nop 1
	v_mov_b32_dpp v2, v1 row_bcast:15 row_mask:0xa bank_mask:0xf
	s_and_saveexec_b64 s[0:1], vcc
	s_cbranch_execz .LBB36_46
; %bb.45:
	s_load_dwordx2 s[0:1], s[4:5], 0x40
	s_ashr_i32 s3, s2, 31
	s_lshl_b64 s[2:3], s[2:3], 3
	v_add_u32_e32 v0, v1, v2
	v_mov_b32_e32 v3, 0
	s_waitcnt lgkmcnt(0)
	s_add_u32 s0, s0, s2
	s_addc_u32 s1, s1, s3
	v_ashrrev_i32_e32 v1, 31, v0
	global_store_dwordx2 v3, v[0:1], s[0:1]
.LBB36_46:
	s_endpgm
	.section	.rodata,"a",@progbits
	.p2align	6, 0x0
	.amdhsa_kernel _ZN9rocsparseL25csrgemm_nnz_block_per_rowILj512ELj16ELj4096ELj79EliEEvPKT4_S3_PKT3_S3_S6_S3_S6_S3_PS4_21rocsparse_index_base_S8_S8_bb
		.amdhsa_group_segment_fixed_size 0
		.amdhsa_private_segment_fixed_size 0
		.amdhsa_kernarg_size 88
		.amdhsa_user_sgpr_count 6
		.amdhsa_user_sgpr_private_segment_buffer 1
		.amdhsa_user_sgpr_dispatch_ptr 0
		.amdhsa_user_sgpr_queue_ptr 0
		.amdhsa_user_sgpr_kernarg_segment_ptr 1
		.amdhsa_user_sgpr_dispatch_id 0
		.amdhsa_user_sgpr_flat_scratch_init 0
		.amdhsa_user_sgpr_kernarg_preload_length 0
		.amdhsa_user_sgpr_kernarg_preload_offset 0
		.amdhsa_user_sgpr_private_segment_size 0
		.amdhsa_uses_dynamic_stack 0
		.amdhsa_system_sgpr_private_segment_wavefront_offset 0
		.amdhsa_system_sgpr_workgroup_id_x 1
		.amdhsa_system_sgpr_workgroup_id_y 0
		.amdhsa_system_sgpr_workgroup_id_z 0
		.amdhsa_system_sgpr_workgroup_info 0
		.amdhsa_system_vgpr_workitem_id 0
		.amdhsa_next_free_vgpr 22
		.amdhsa_next_free_sgpr 46
		.amdhsa_accum_offset 24
		.amdhsa_reserve_vcc 1
		.amdhsa_reserve_flat_scratch 0
		.amdhsa_float_round_mode_32 0
		.amdhsa_float_round_mode_16_64 0
		.amdhsa_float_denorm_mode_32 3
		.amdhsa_float_denorm_mode_16_64 3
		.amdhsa_dx10_clamp 1
		.amdhsa_ieee_mode 1
		.amdhsa_fp16_overflow 0
		.amdhsa_tg_split 0
		.amdhsa_exception_fp_ieee_invalid_op 0
		.amdhsa_exception_fp_denorm_src 0
		.amdhsa_exception_fp_ieee_div_zero 0
		.amdhsa_exception_fp_ieee_overflow 0
		.amdhsa_exception_fp_ieee_underflow 0
		.amdhsa_exception_fp_ieee_inexact 0
		.amdhsa_exception_int_div_zero 0
	.end_amdhsa_kernel
	.section	.text._ZN9rocsparseL25csrgemm_nnz_block_per_rowILj512ELj16ELj4096ELj79EliEEvPKT4_S3_PKT3_S3_S6_S3_S6_S3_PS4_21rocsparse_index_base_S8_S8_bb,"axG",@progbits,_ZN9rocsparseL25csrgemm_nnz_block_per_rowILj512ELj16ELj4096ELj79EliEEvPKT4_S3_PKT3_S3_S6_S3_S6_S3_PS4_21rocsparse_index_base_S8_S8_bb,comdat
.Lfunc_end36:
	.size	_ZN9rocsparseL25csrgemm_nnz_block_per_rowILj512ELj16ELj4096ELj79EliEEvPKT4_S3_PKT3_S3_S6_S3_S6_S3_PS4_21rocsparse_index_base_S8_S8_bb, .Lfunc_end36-_ZN9rocsparseL25csrgemm_nnz_block_per_rowILj512ELj16ELj4096ELj79EliEEvPKT4_S3_PKT3_S3_S6_S3_S6_S3_PS4_21rocsparse_index_base_S8_S8_bb
                                        ; -- End function
	.section	.AMDGPU.csdata,"",@progbits
; Kernel info:
; codeLenInByte = 1564
; NumSgprs: 50
; NumVgprs: 22
; NumAgprs: 0
; TotalNumVgprs: 22
; ScratchSize: 0
; MemoryBound: 0
; FloatMode: 240
; IeeeMode: 1
; LDSByteSize: 0 bytes/workgroup (compile time only)
; SGPRBlocks: 6
; VGPRBlocks: 2
; NumSGPRsForWavesPerEU: 50
; NumVGPRsForWavesPerEU: 22
; AccumOffset: 24
; Occupancy: 8
; WaveLimiterHint : 1
; COMPUTE_PGM_RSRC2:SCRATCH_EN: 0
; COMPUTE_PGM_RSRC2:USER_SGPR: 6
; COMPUTE_PGM_RSRC2:TRAP_HANDLER: 0
; COMPUTE_PGM_RSRC2:TGID_X_EN: 1
; COMPUTE_PGM_RSRC2:TGID_Y_EN: 0
; COMPUTE_PGM_RSRC2:TGID_Z_EN: 0
; COMPUTE_PGM_RSRC2:TIDIG_COMP_CNT: 0
; COMPUTE_PGM_RSRC3_GFX90A:ACCUM_OFFSET: 5
; COMPUTE_PGM_RSRC3_GFX90A:TG_SPLIT: 0
	.section	.text._ZN9rocsparseL25csrgemm_nnz_block_per_rowILj1024ELj32ELj8192ELj79EliEEvPKT4_S3_PKT3_S3_S6_S3_S6_S3_PS4_21rocsparse_index_base_S8_S8_bb,"axG",@progbits,_ZN9rocsparseL25csrgemm_nnz_block_per_rowILj1024ELj32ELj8192ELj79EliEEvPKT4_S3_PKT3_S3_S6_S3_S6_S3_PS4_21rocsparse_index_base_S8_S8_bb,comdat
	.globl	_ZN9rocsparseL25csrgemm_nnz_block_per_rowILj1024ELj32ELj8192ELj79EliEEvPKT4_S3_PKT3_S3_S6_S3_S6_S3_PS4_21rocsparse_index_base_S8_S8_bb ; -- Begin function _ZN9rocsparseL25csrgemm_nnz_block_per_rowILj1024ELj32ELj8192ELj79EliEEvPKT4_S3_PKT3_S3_S6_S3_S6_S3_PS4_21rocsparse_index_base_S8_S8_bb
	.p2align	8
	.type	_ZN9rocsparseL25csrgemm_nnz_block_per_rowILj1024ELj32ELj8192ELj79EliEEvPKT4_S3_PKT3_S3_S6_S3_S6_S3_PS4_21rocsparse_index_base_S8_S8_bb,@function
_ZN9rocsparseL25csrgemm_nnz_block_per_rowILj1024ELj32ELj8192ELj79EliEEvPKT4_S3_PKT3_S3_S6_S3_S6_S3_PS4_21rocsparse_index_base_S8_S8_bb: ; @_ZN9rocsparseL25csrgemm_nnz_block_per_rowILj1024ELj32ELj8192ELj79EliEEvPKT4_S3_PKT3_S3_S6_S3_S6_S3_PS4_21rocsparse_index_base_S8_S8_bb
; %bb.0:
	s_load_dwordx4 s[0:3], s[4:5], 0x0
	s_mov_b32 s7, 0
	v_mov_b32_e32 v10, 0
	v_mov_b32_e32 v2, -1
	s_load_dwordx4 s[8:11], s[4:5], 0x48
	s_waitcnt lgkmcnt(0)
	s_load_dword s12, s[0:1], 0x0
	v_and_b32_e32 v8, 31, v0
	v_lshl_add_u32 v1, v0, 2, 0
	v_lshrrev_b32_e32 v9, 5, v0
	s_waitcnt lgkmcnt(0)
	s_add_i32 s6, s12, s6
	s_lshl_b64 s[0:1], s[6:7], 2
	s_add_u32 s0, s2, s0
	s_addc_u32 s1, s3, s1
	s_load_dword s2, s[0:1], 0x0
	s_bitcmp0_b32 s11, 0
	ds_write2st64_b32 v1, v2, v2 offset1:16
	ds_write2st64_b32 v1, v2, v2 offset0:32 offset1:48
	ds_write2st64_b32 v1, v2, v2 offset0:64 offset1:80
	;; [unrolled: 1-line block ×3, first 2 shown]
	s_waitcnt lgkmcnt(0)
	s_barrier
	s_cbranch_scc1 .LBB37_18
; %bb.1:
	s_load_dwordx2 s[0:1], s[4:5], 0x10
	s_ashr_i32 s3, s2, 31
	s_lshl_b64 s[6:7], s[2:3], 3
	v_subrev_co_u32_e32 v2, vcc, s8, v9
	s_waitcnt lgkmcnt(0)
	s_add_u32 s0, s0, s6
	s_addc_u32 s1, s1, s7
	s_load_dwordx4 s[12:15], s[0:1], 0x0
	v_subb_co_u32_e64 v3, s[0:1], 0, 0, vcc
	v_mov_b32_e32 v10, 0
	s_waitcnt lgkmcnt(0)
	s_sub_u32 s6, s14, s8
	v_mov_b32_e32 v4, s13
	v_add_co_u32_e32 v2, vcc, s12, v2
	s_subb_u32 s7, s15, 0
	v_addc_co_u32_e32 v3, vcc, v3, v4, vcc
	v_cmp_gt_i64_e32 vcc, s[6:7], v[2:3]
	s_and_saveexec_b64 s[16:17], vcc
	s_cbranch_execz .LBB37_17
; %bb.2:
	s_load_dwordx4 s[12:15], s[4:5], 0x18
	s_load_dwordx2 s[18:19], s[4:5], 0x28
	s_mov_b32 s11, 0
	v_subrev_co_u32_e32 v11, vcc, s9, v8
	s_mov_b32 s3, s9
	v_subb_co_u32_e64 v12, s[0:1], 0, 0, vcc
	s_mov_b64 s[20:21], 0
	v_mov_b32_e32 v10, 0
	s_waitcnt lgkmcnt(0)
	v_mov_b32_e32 v13, s13
	v_mov_b32_e32 v14, s15
	;; [unrolled: 1-line block ×3, first 2 shown]
	s_movk_i32 s11, 0x4f
	v_mov_b32_e32 v16, -1
	s_branch .LBB37_5
.LBB37_3:                               ;   in Loop: Header=BB37_5 Depth=1
	s_or_b64 exec, exec, s[24:25]
.LBB37_4:                               ;   in Loop: Header=BB37_5 Depth=1
	s_or_b64 exec, exec, s[22:23]
	v_add_co_u32_e32 v2, vcc, 32, v2
	v_addc_co_u32_e32 v3, vcc, 0, v3, vcc
	v_cmp_le_i64_e32 vcc, s[6:7], v[2:3]
	s_or_b64 s[20:21], vcc, s[20:21]
	s_andn2_b64 exec, exec, s[20:21]
	s_cbranch_execz .LBB37_16
.LBB37_5:                               ; =>This Loop Header: Depth=1
                                        ;     Child Loop BB37_8 Depth 2
                                        ;       Child Loop BB37_11 Depth 3
	v_lshlrev_b64 v[4:5], 2, v[2:3]
	v_add_co_u32_e32 v4, vcc, s12, v4
	v_addc_co_u32_e32 v5, vcc, v13, v5, vcc
	global_load_dword v4, v[4:5], off
	s_waitcnt vmcnt(0)
	v_subrev_u32_e32 v4, s8, v4
	v_ashrrev_i32_e32 v5, 31, v4
	v_lshlrev_b64 v[4:5], 3, v[4:5]
	v_add_co_u32_e32 v4, vcc, s14, v4
	v_addc_co_u32_e32 v5, vcc, v14, v5, vcc
	global_load_dwordx4 v[18:21], v[4:5], off
	s_waitcnt vmcnt(0)
	v_subrev_co_u32_e32 v4, vcc, s3, v20
	v_subb_co_u32_e32 v5, vcc, v21, v15, vcc
	v_add_co_u32_e32 v6, vcc, v11, v18
	v_addc_co_u32_e32 v7, vcc, v12, v19, vcc
	v_cmp_lt_i64_e32 vcc, v[6:7], v[4:5]
	s_and_saveexec_b64 s[22:23], vcc
	s_cbranch_execz .LBB37_4
; %bb.6:                                ;   in Loop: Header=BB37_5 Depth=1
	s_mov_b64 s[24:25], 0
	s_branch .LBB37_8
.LBB37_7:                               ;   in Loop: Header=BB37_8 Depth=2
	s_or_b64 exec, exec, s[34:35]
	v_add_co_u32_e32 v6, vcc, 32, v6
	v_addc_co_u32_e32 v7, vcc, 0, v7, vcc
	v_cndmask_b32_e64 v17, 0, 1, s[26:27]
	v_cmp_ge_i64_e32 vcc, v[6:7], v[4:5]
	s_or_b64 s[24:25], vcc, s[24:25]
	v_add_u32_e32 v10, v10, v17
	s_andn2_b64 exec, exec, s[24:25]
	s_cbranch_execz .LBB37_3
.LBB37_8:                               ;   Parent Loop BB37_5 Depth=1
                                        ; =>  This Loop Header: Depth=2
                                        ;       Child Loop BB37_11 Depth 3
	v_lshlrev_b64 v[18:19], 2, v[6:7]
	v_mov_b32_e32 v17, s19
	v_add_co_u32_e32 v18, vcc, s18, v18
	v_addc_co_u32_e32 v19, vcc, v17, v19, vcc
	global_load_dword v17, v[18:19], off
	s_mov_b64 s[34:35], 0
                                        ; implicit-def: $sgpr26_sgpr27
                                        ; implicit-def: $sgpr28_sgpr29
                                        ; implicit-def: $sgpr30_sgpr31
                                        ; implicit-def: $sgpr36_sgpr37
	s_waitcnt vmcnt(0)
	v_subrev_u32_e32 v17, s9, v17
	v_mul_lo_u32 v18, v17, s11
	v_and_b32_e32 v18, 0x1fff, v18
	s_branch .LBB37_11
.LBB37_9:                               ;   in Loop: Header=BB37_11 Depth=3
	s_or_b64 exec, exec, s[42:43]
	s_andn2_b64 s[30:31], s[30:31], exec
	s_and_b64 s[36:37], s[40:41], exec
	s_andn2_b64 s[28:29], s[28:29], exec
	s_and_b64 s[0:1], s[0:1], exec
	s_or_b64 s[30:31], s[30:31], s[36:37]
	s_or_b64 s[28:29], s[28:29], s[0:1]
                                        ; implicit-def: $sgpr36_sgpr37
.LBB37_10:                              ;   in Loop: Header=BB37_11 Depth=3
	s_or_b64 exec, exec, s[38:39]
	s_xor_b64 s[0:1], s[28:29], -1
	s_and_b64 s[0:1], exec, s[0:1]
	s_or_b64 s[34:35], s[0:1], s[34:35]
	s_andn2_b64 s[0:1], s[36:37], exec
	s_and_b64 s[38:39], s[30:31], exec
	s_or_b64 s[36:37], s[0:1], s[38:39]
	s_andn2_b64 s[0:1], s[26:27], exec
	s_or_b64 s[26:27], s[0:1], s[38:39]
	s_andn2_b64 exec, exec, s[34:35]
	s_cbranch_execz .LBB37_7
.LBB37_11:                              ;   Parent Loop BB37_5 Depth=1
                                        ;     Parent Loop BB37_8 Depth=2
                                        ; =>    This Inner Loop Header: Depth=3
	v_lshl_add_u32 v19, v18, 2, 0
	ds_read_b32 v20, v19
	s_andn2_b64 s[30:31], s[30:31], exec
	s_andn2_b64 s[28:29], s[28:29], exec
	s_waitcnt lgkmcnt(0)
	v_cmp_ne_u32_e32 vcc, v20, v17
	s_and_saveexec_b64 s[38:39], vcc
	s_cbranch_execz .LBB37_10
; %bb.12:                               ;   in Loop: Header=BB37_11 Depth=3
	v_cmp_ne_u32_e32 vcc, -1, v20
                                        ; implicit-def: $sgpr40_sgpr41
                                        ; implicit-def: $sgpr0_sgpr1
	s_and_saveexec_b64 s[42:43], vcc
	s_xor_b64 s[42:43], exec, s[42:43]
; %bb.13:                               ;   in Loop: Header=BB37_11 Depth=3
	v_add_u32_e32 v18, 1, v18
	v_and_b32_e32 v18, 0x1fff, v18
	s_mov_b64 s[0:1], -1
	s_and_b64 s[40:41], s[36:37], exec
                                        ; implicit-def: $vgpr19
; %bb.14:                               ;   in Loop: Header=BB37_11 Depth=3
	s_andn2_saveexec_b64 s[42:43], s[42:43]
	s_cbranch_execz .LBB37_9
; %bb.15:                               ;   in Loop: Header=BB37_11 Depth=3
	ds_cmpst_rtn_b32 v19, v19, v16, v17
	s_andn2_b64 s[44:45], s[0:1], exec
	s_andn2_b64 s[40:41], s[40:41], exec
	s_waitcnt lgkmcnt(0)
	v_cmp_eq_u32_e64 s[0:1], -1, v19
	v_cmp_ne_u32_e32 vcc, -1, v19
	s_or_b64 s[36:37], s[0:1], s[36:37]
	s_and_b64 s[0:1], vcc, exec
	s_and_b64 s[36:37], s[36:37], exec
	s_or_b64 s[0:1], s[44:45], s[0:1]
	s_or_b64 s[40:41], s[40:41], s[36:37]
	s_branch .LBB37_9
.LBB37_16:
	s_or_b64 exec, exec, s[20:21]
.LBB37_17:
	s_or_b64 exec, exec, s[16:17]
.LBB37_18:
	s_load_dword s0, s[4:5], 0x54
	s_waitcnt lgkmcnt(0)
	s_bfe_u32 s0, s0, 0x10008
	s_cmp_eq_u32 s0, 0
	s_cbranch_scc1 .LBB37_32
; %bb.19:
	s_load_dwordx2 s[0:1], s[4:5], 0x30
	s_ashr_i32 s3, s2, 31
	s_lshl_b64 s[6:7], s[2:3], 3
	v_subrev_co_u32_e32 v2, vcc, s10, v9
	s_waitcnt lgkmcnt(0)
	s_add_u32 s0, s0, s6
	s_addc_u32 s1, s1, s7
	s_load_dwordx4 s[12:15], s[0:1], 0x0
	v_subb_co_u32_e64 v3, s[0:1], 0, 0, vcc
	s_waitcnt lgkmcnt(0)
	s_sub_u32 s6, s14, s10
	v_mov_b32_e32 v4, s13
	v_add_co_u32_e32 v2, vcc, s12, v2
	s_subb_u32 s7, s15, 0
	v_addc_co_u32_e32 v3, vcc, v3, v4, vcc
	v_cmp_gt_i64_e32 vcc, s[6:7], v[2:3]
	s_and_saveexec_b64 s[8:9], vcc
	s_cbranch_execz .LBB37_31
; %bb.20:
	s_load_dwordx2 s[12:13], s[4:5], 0x38
	s_mov_b64 s[14:15], 0
	s_movk_i32 s3, 0x4f
	v_mov_b32_e32 v5, -1
	s_waitcnt lgkmcnt(0)
	v_mov_b32_e32 v4, s13
	s_branch .LBB37_22
.LBB37_21:                              ;   in Loop: Header=BB37_22 Depth=1
	s_or_b64 exec, exec, s[22:23]
	v_add_co_u32_e32 v2, vcc, 32, v2
	v_addc_co_u32_e32 v3, vcc, 0, v3, vcc
	v_cndmask_b32_e64 v6, 0, 1, s[16:17]
	v_cmp_le_i64_e32 vcc, s[6:7], v[2:3]
	s_or_b64 s[14:15], vcc, s[14:15]
	v_add_u32_e32 v10, v10, v6
	s_andn2_b64 exec, exec, s[14:15]
	s_cbranch_execz .LBB37_30
.LBB37_22:                              ; =>This Loop Header: Depth=1
                                        ;     Child Loop BB37_25 Depth 2
	v_lshlrev_b64 v[6:7], 2, v[2:3]
	v_add_co_u32_e32 v6, vcc, s12, v6
	v_addc_co_u32_e32 v7, vcc, v4, v7, vcc
	global_load_dword v6, v[6:7], off
	s_mov_b64 s[22:23], 0
                                        ; implicit-def: $sgpr16_sgpr17
                                        ; implicit-def: $sgpr18_sgpr19
                                        ; implicit-def: $sgpr20_sgpr21
                                        ; implicit-def: $sgpr24_sgpr25
	s_waitcnt vmcnt(0)
	v_subrev_u32_e32 v6, s10, v6
	v_mul_lo_u32 v7, v6, s3
	v_and_b32_e32 v7, 0x1fff, v7
	s_branch .LBB37_25
.LBB37_23:                              ;   in Loop: Header=BB37_25 Depth=2
	s_or_b64 exec, exec, s[30:31]
	s_andn2_b64 s[20:21], s[20:21], exec
	s_and_b64 s[24:25], s[28:29], exec
	s_andn2_b64 s[18:19], s[18:19], exec
	s_and_b64 s[0:1], s[0:1], exec
	s_or_b64 s[20:21], s[20:21], s[24:25]
	s_or_b64 s[18:19], s[18:19], s[0:1]
                                        ; implicit-def: $sgpr24_sgpr25
.LBB37_24:                              ;   in Loop: Header=BB37_25 Depth=2
	s_or_b64 exec, exec, s[26:27]
	s_xor_b64 s[0:1], s[18:19], -1
	s_and_b64 s[0:1], exec, s[0:1]
	s_or_b64 s[22:23], s[0:1], s[22:23]
	s_andn2_b64 s[0:1], s[24:25], exec
	s_and_b64 s[26:27], s[20:21], exec
	s_or_b64 s[24:25], s[0:1], s[26:27]
	s_andn2_b64 s[0:1], s[16:17], exec
	s_or_b64 s[16:17], s[0:1], s[26:27]
	s_andn2_b64 exec, exec, s[22:23]
	s_cbranch_execz .LBB37_21
.LBB37_25:                              ;   Parent Loop BB37_22 Depth=1
                                        ; =>  This Inner Loop Header: Depth=2
	v_lshl_add_u32 v11, v7, 2, 0
	ds_read_b32 v12, v11
	s_andn2_b64 s[20:21], s[20:21], exec
	s_andn2_b64 s[18:19], s[18:19], exec
	s_waitcnt lgkmcnt(0)
	v_cmp_ne_u32_e32 vcc, v12, v6
	s_and_saveexec_b64 s[26:27], vcc
	s_cbranch_execz .LBB37_24
; %bb.26:                               ;   in Loop: Header=BB37_25 Depth=2
	v_cmp_ne_u32_e32 vcc, -1, v12
                                        ; implicit-def: $sgpr28_sgpr29
                                        ; implicit-def: $sgpr0_sgpr1
	s_and_saveexec_b64 s[30:31], vcc
	s_xor_b64 s[30:31], exec, s[30:31]
; %bb.27:                               ;   in Loop: Header=BB37_25 Depth=2
	v_add_u32_e32 v7, 1, v7
	v_and_b32_e32 v7, 0x1fff, v7
	s_mov_b64 s[0:1], -1
	s_and_b64 s[28:29], s[24:25], exec
                                        ; implicit-def: $vgpr11
; %bb.28:                               ;   in Loop: Header=BB37_25 Depth=2
	s_andn2_saveexec_b64 s[30:31], s[30:31]
	s_cbranch_execz .LBB37_23
; %bb.29:                               ;   in Loop: Header=BB37_25 Depth=2
	ds_cmpst_rtn_b32 v11, v11, v5, v6
	s_andn2_b64 s[34:35], s[0:1], exec
	s_andn2_b64 s[28:29], s[28:29], exec
	s_waitcnt lgkmcnt(0)
	v_cmp_eq_u32_e64 s[0:1], -1, v11
	v_cmp_ne_u32_e32 vcc, -1, v11
	s_or_b64 s[24:25], s[0:1], s[24:25]
	s_and_b64 s[0:1], vcc, exec
	s_and_b64 s[24:25], s[24:25], exec
	s_or_b64 s[0:1], s[34:35], s[0:1]
	s_or_b64 s[28:29], s[28:29], s[24:25]
	s_branch .LBB37_23
.LBB37_30:
	s_or_b64 exec, exec, s[14:15]
.LBB37_31:
	s_or_b64 exec, exec, s[8:9]
.LBB37_32:
	v_mov_b32_dpp v2, v10 row_shr:1 row_mask:0xf bank_mask:0xf
	v_add_u32_e32 v2, v2, v10
	v_cmp_eq_u32_e32 vcc, 31, v8
	s_nop 0
	v_mov_b32_dpp v3, v2 row_shr:2 row_mask:0xf bank_mask:0xf
	v_add_u32_e32 v2, v2, v3
	s_barrier
	s_nop 0
	v_mov_b32_dpp v3, v2 row_shr:4 row_mask:0xf bank_mask:0xe
	v_add_u32_e32 v2, v2, v3
	s_nop 1
	v_mov_b32_dpp v3, v2 row_shr:8 row_mask:0xf bank_mask:0xc
	v_add_u32_e32 v2, v2, v3
	s_nop 1
	v_mov_b32_dpp v3, v2 row_bcast:15 row_mask:0xa bank_mask:0xf
	s_and_saveexec_b64 s[0:1], vcc
	s_cbranch_execz .LBB37_34
; %bb.33:
	v_lshl_add_u32 v4, v9, 2, 0
	v_add_u32_e32 v2, v2, v3
	ds_write_b32 v4, v2
.LBB37_34:
	s_or_b64 exec, exec, s[0:1]
	v_cmp_gt_u32_e32 vcc, 32, v0
	v_mov_b32_e32 v2, 0
	s_waitcnt lgkmcnt(0)
	s_barrier
	s_and_saveexec_b64 s[0:1], vcc
	s_cbranch_execz .LBB37_36
; %bb.35:
	ds_read_b32 v2, v1
.LBB37_36:
	s_or_b64 exec, exec, s[0:1]
	s_waitcnt lgkmcnt(0)
	v_mov_b32_dpp v1, v2 row_shr:1 row_mask:0xf bank_mask:0xf
	v_add_u32_e32 v1, v1, v2
	v_cmp_eq_u32_e32 vcc, 31, v0
	s_nop 0
	v_mov_b32_dpp v2, v1 row_shr:2 row_mask:0xf bank_mask:0xf
	v_add_u32_e32 v1, v1, v2
	s_nop 1
	v_mov_b32_dpp v2, v1 row_shr:4 row_mask:0xf bank_mask:0xe
	v_add_u32_e32 v1, v1, v2
	;; [unrolled: 3-line block ×3, first 2 shown]
	s_nop 1
	v_mov_b32_dpp v2, v1 row_bcast:15 row_mask:0xa bank_mask:0xf
	s_and_saveexec_b64 s[0:1], vcc
	s_cbranch_execz .LBB37_38
; %bb.37:
	s_load_dwordx2 s[0:1], s[4:5], 0x40
	s_ashr_i32 s3, s2, 31
	s_lshl_b64 s[2:3], s[2:3], 3
	v_add_u32_e32 v0, v1, v2
	v_mov_b32_e32 v3, 0
	s_waitcnt lgkmcnt(0)
	s_add_u32 s0, s0, s2
	s_addc_u32 s1, s1, s3
	v_ashrrev_i32_e32 v1, 31, v0
	global_store_dwordx2 v3, v[0:1], s[0:1]
.LBB37_38:
	s_endpgm
	.section	.rodata,"a",@progbits
	.p2align	6, 0x0
	.amdhsa_kernel _ZN9rocsparseL25csrgemm_nnz_block_per_rowILj1024ELj32ELj8192ELj79EliEEvPKT4_S3_PKT3_S3_S6_S3_S6_S3_PS4_21rocsparse_index_base_S8_S8_bb
		.amdhsa_group_segment_fixed_size 0
		.amdhsa_private_segment_fixed_size 0
		.amdhsa_kernarg_size 88
		.amdhsa_user_sgpr_count 6
		.amdhsa_user_sgpr_private_segment_buffer 1
		.amdhsa_user_sgpr_dispatch_ptr 0
		.amdhsa_user_sgpr_queue_ptr 0
		.amdhsa_user_sgpr_kernarg_segment_ptr 1
		.amdhsa_user_sgpr_dispatch_id 0
		.amdhsa_user_sgpr_flat_scratch_init 0
		.amdhsa_user_sgpr_kernarg_preload_length 0
		.amdhsa_user_sgpr_kernarg_preload_offset 0
		.amdhsa_user_sgpr_private_segment_size 0
		.amdhsa_uses_dynamic_stack 0
		.amdhsa_system_sgpr_private_segment_wavefront_offset 0
		.amdhsa_system_sgpr_workgroup_id_x 1
		.amdhsa_system_sgpr_workgroup_id_y 0
		.amdhsa_system_sgpr_workgroup_id_z 0
		.amdhsa_system_sgpr_workgroup_info 0
		.amdhsa_system_vgpr_workitem_id 0
		.amdhsa_next_free_vgpr 22
		.amdhsa_next_free_sgpr 46
		.amdhsa_accum_offset 24
		.amdhsa_reserve_vcc 1
		.amdhsa_reserve_flat_scratch 0
		.amdhsa_float_round_mode_32 0
		.amdhsa_float_round_mode_16_64 0
		.amdhsa_float_denorm_mode_32 3
		.amdhsa_float_denorm_mode_16_64 3
		.amdhsa_dx10_clamp 1
		.amdhsa_ieee_mode 1
		.amdhsa_fp16_overflow 0
		.amdhsa_tg_split 0
		.amdhsa_exception_fp_ieee_invalid_op 0
		.amdhsa_exception_fp_denorm_src 0
		.amdhsa_exception_fp_ieee_div_zero 0
		.amdhsa_exception_fp_ieee_overflow 0
		.amdhsa_exception_fp_ieee_underflow 0
		.amdhsa_exception_fp_ieee_inexact 0
		.amdhsa_exception_int_div_zero 0
	.end_amdhsa_kernel
	.section	.text._ZN9rocsparseL25csrgemm_nnz_block_per_rowILj1024ELj32ELj8192ELj79EliEEvPKT4_S3_PKT3_S3_S6_S3_S6_S3_PS4_21rocsparse_index_base_S8_S8_bb,"axG",@progbits,_ZN9rocsparseL25csrgemm_nnz_block_per_rowILj1024ELj32ELj8192ELj79EliEEvPKT4_S3_PKT3_S3_S6_S3_S6_S3_PS4_21rocsparse_index_base_S8_S8_bb,comdat
.Lfunc_end37:
	.size	_ZN9rocsparseL25csrgemm_nnz_block_per_rowILj1024ELj32ELj8192ELj79EliEEvPKT4_S3_PKT3_S3_S6_S3_S6_S3_PS4_21rocsparse_index_base_S8_S8_bb, .Lfunc_end37-_ZN9rocsparseL25csrgemm_nnz_block_per_rowILj1024ELj32ELj8192ELj79EliEEvPKT4_S3_PKT3_S3_S6_S3_S6_S3_PS4_21rocsparse_index_base_S8_S8_bb
                                        ; -- End function
	.section	.AMDGPU.csdata,"",@progbits
; Kernel info:
; codeLenInByte = 1484
; NumSgprs: 50
; NumVgprs: 22
; NumAgprs: 0
; TotalNumVgprs: 22
; ScratchSize: 0
; MemoryBound: 0
; FloatMode: 240
; IeeeMode: 1
; LDSByteSize: 0 bytes/workgroup (compile time only)
; SGPRBlocks: 6
; VGPRBlocks: 2
; NumSGPRsForWavesPerEU: 50
; NumVGPRsForWavesPerEU: 22
; AccumOffset: 24
; Occupancy: 8
; WaveLimiterHint : 1
; COMPUTE_PGM_RSRC2:SCRATCH_EN: 0
; COMPUTE_PGM_RSRC2:USER_SGPR: 6
; COMPUTE_PGM_RSRC2:TRAP_HANDLER: 0
; COMPUTE_PGM_RSRC2:TGID_X_EN: 1
; COMPUTE_PGM_RSRC2:TGID_Y_EN: 0
; COMPUTE_PGM_RSRC2:TGID_Z_EN: 0
; COMPUTE_PGM_RSRC2:TIDIG_COMP_CNT: 0
; COMPUTE_PGM_RSRC3_GFX90A:ACCUM_OFFSET: 5
; COMPUTE_PGM_RSRC3_GFX90A:TG_SPLIT: 0
	.section	.text._ZN9rocsparseL25csrgemm_nnz_block_per_rowILj1024ELj32ELj16384ELj79EliEEvPKT4_S3_PKT3_S3_S6_S3_S6_S3_PS4_21rocsparse_index_base_S8_S8_bb,"axG",@progbits,_ZN9rocsparseL25csrgemm_nnz_block_per_rowILj1024ELj32ELj16384ELj79EliEEvPKT4_S3_PKT3_S3_S6_S3_S6_S3_PS4_21rocsparse_index_base_S8_S8_bb,comdat
	.globl	_ZN9rocsparseL25csrgemm_nnz_block_per_rowILj1024ELj32ELj16384ELj79EliEEvPKT4_S3_PKT3_S3_S6_S3_S6_S3_PS4_21rocsparse_index_base_S8_S8_bb ; -- Begin function _ZN9rocsparseL25csrgemm_nnz_block_per_rowILj1024ELj32ELj16384ELj79EliEEvPKT4_S3_PKT3_S3_S6_S3_S6_S3_PS4_21rocsparse_index_base_S8_S8_bb
	.p2align	8
	.type	_ZN9rocsparseL25csrgemm_nnz_block_per_rowILj1024ELj32ELj16384ELj79EliEEvPKT4_S3_PKT3_S3_S6_S3_S6_S3_PS4_21rocsparse_index_base_S8_S8_bb,@function
_ZN9rocsparseL25csrgemm_nnz_block_per_rowILj1024ELj32ELj16384ELj79EliEEvPKT4_S3_PKT3_S3_S6_S3_S6_S3_PS4_21rocsparse_index_base_S8_S8_bb: ; @_ZN9rocsparseL25csrgemm_nnz_block_per_rowILj1024ELj32ELj16384ELj79EliEEvPKT4_S3_PKT3_S3_S6_S3_S6_S3_PS4_21rocsparse_index_base_S8_S8_bb
; %bb.0:
	s_load_dwordx8 s[16:23], s[4:5], 0x0
	s_mov_b32 s1, 0
	v_or_b32_e32 v1, 0xfffffc00, v0
	v_lshl_add_u32 v2, v0, 2, 0
	v_mov_b32_e32 v3, -1
	s_waitcnt lgkmcnt(0)
	s_load_dword s0, s[16:17], 0x0
	s_load_dwordx2 s[2:3], s[4:5], 0x40
	s_load_dwordx8 s[8:15], s[4:5], 0x20
	s_movk_i32 s7, 0x3bff
	s_waitcnt lgkmcnt(0)
	s_add_i32 s0, s0, s6
	s_lshl_b64 s[0:1], s[0:1], 2
	s_add_u32 s0, s18, s0
	s_addc_u32 s1, s19, s1
	s_load_dword s6, s[0:1], 0x0
	s_mov_b64 s[0:1], 0
.LBB38_1:                               ; =>This Inner Loop Header: Depth=1
	v_add_u32_e32 v1, 0x400, v1
	v_cmp_lt_u32_e32 vcc, s7, v1
	ds_write_b32 v2, v3
	s_or_b64 s[0:1], vcc, s[0:1]
	v_add_u32_e32 v2, 0x1000, v2
	s_andn2_b64 exec, exec, s[0:1]
	s_cbranch_execnz .LBB38_1
; %bb.2:
	s_or_b64 exec, exec, s[0:1]
	s_load_dwordx4 s[16:19], s[4:5], 0x48
	v_and_b32_e32 v8, 31, v0
	v_lshrrev_b32_e32 v1, 5, v0
	v_mov_b32_e32 v9, 0
	s_waitcnt lgkmcnt(0)
	s_bitcmp1_b32 s19, 0
	s_cselect_b64 s[0:1], -1, 0
	s_and_b64 vcc, exec, s[0:1]
	s_barrier
	s_cbranch_vccz .LBB38_20
; %bb.3:
	s_ashr_i32 s7, s6, 31
	s_lshl_b64 s[0:1], s[6:7], 3
	s_add_u32 s0, s20, s0
	s_addc_u32 s1, s21, s1
	s_load_dwordx4 s[24:27], s[0:1], 0x0
	v_subrev_co_u32_e32 v2, vcc, s16, v1
	s_mov_b32 s0, 0
	v_mov_b32_e32 v9, 0
	s_waitcnt lgkmcnt(0)
	s_sub_u32 s20, s26, s16
	s_subb_u32 s21, s27, 0
	v_subb_co_u32_e64 v3, s[26:27], 0, 0, vcc
	v_mov_b32_e32 v4, s25
	v_add_co_u32_e32 v2, vcc, s24, v2
	v_addc_co_u32_e32 v3, vcc, v3, v4, vcc
	v_cmp_gt_i64_e32 vcc, s[20:21], v[2:3]
	s_and_saveexec_b64 s[24:25], vcc
	s_cbranch_execz .LBB38_19
; %bb.4:
	v_subrev_co_u32_e32 v10, vcc, s17, v8
	v_subb_co_u32_e64 v11, s[26:27], 0, 0, vcc
	s_mov_b32 s7, s17
	s_mov_b64 s[26:27], 0
	v_mov_b32_e32 v9, 0
	v_mov_b32_e32 v12, s23
	;; [unrolled: 1-line block ×4, first 2 shown]
	s_movk_i32 s9, 0x4f
	v_mov_b32_e32 v15, -1
	s_branch .LBB38_7
.LBB38_5:                               ;   in Loop: Header=BB38_7 Depth=1
	s_or_b64 exec, exec, s[30:31]
.LBB38_6:                               ;   in Loop: Header=BB38_7 Depth=1
	s_or_b64 exec, exec, s[28:29]
	v_add_co_u32_e32 v2, vcc, 32, v2
	v_addc_co_u32_e32 v3, vcc, 0, v3, vcc
	v_cmp_le_i64_e32 vcc, s[20:21], v[2:3]
	s_or_b64 s[26:27], vcc, s[26:27]
	s_andn2_b64 exec, exec, s[26:27]
	s_cbranch_execz .LBB38_18
.LBB38_7:                               ; =>This Loop Header: Depth=1
                                        ;     Child Loop BB38_10 Depth 2
                                        ;       Child Loop BB38_13 Depth 3
	v_lshlrev_b64 v[4:5], 2, v[2:3]
	v_add_co_u32_e32 v4, vcc, s22, v4
	v_addc_co_u32_e32 v5, vcc, v12, v5, vcc
	global_load_dword v4, v[4:5], off
	s_waitcnt vmcnt(0)
	v_subrev_u32_e32 v4, s16, v4
	v_ashrrev_i32_e32 v5, 31, v4
	v_lshlrev_b64 v[4:5], 3, v[4:5]
	v_add_co_u32_e32 v4, vcc, s8, v4
	v_addc_co_u32_e32 v5, vcc, v13, v5, vcc
	global_load_dwordx4 v[16:19], v[4:5], off
	s_waitcnt vmcnt(0)
	v_subrev_co_u32_e32 v4, vcc, s7, v18
	v_subb_co_u32_e32 v5, vcc, v19, v14, vcc
	v_add_co_u32_e32 v6, vcc, v10, v16
	v_addc_co_u32_e32 v7, vcc, v11, v17, vcc
	v_cmp_lt_i64_e32 vcc, v[6:7], v[4:5]
	s_and_saveexec_b64 s[28:29], vcc
	s_cbranch_execz .LBB38_6
; %bb.8:                                ;   in Loop: Header=BB38_7 Depth=1
	s_mov_b64 s[30:31], 0
	s_branch .LBB38_10
.LBB38_9:                               ;   in Loop: Header=BB38_10 Depth=2
	s_or_b64 exec, exec, s[40:41]
	v_add_co_u32_e32 v6, vcc, 32, v6
	v_addc_co_u32_e32 v7, vcc, 0, v7, vcc
	v_cndmask_b32_e64 v16, 0, 1, s[34:35]
	v_cmp_ge_i64_e32 vcc, v[6:7], v[4:5]
	s_or_b64 s[30:31], vcc, s[30:31]
	v_add_u32_e32 v9, v9, v16
	s_andn2_b64 exec, exec, s[30:31]
	s_cbranch_execz .LBB38_5
.LBB38_10:                              ;   Parent Loop BB38_7 Depth=1
                                        ; =>  This Loop Header: Depth=2
                                        ;       Child Loop BB38_13 Depth 3
	v_lshlrev_b64 v[16:17], 2, v[6:7]
	v_mov_b32_e32 v18, s11
	v_add_co_u32_e32 v16, vcc, s10, v16
	v_addc_co_u32_e32 v17, vcc, v18, v17, vcc
	global_load_dword v16, v[16:17], off
	s_mov_b64 s[40:41], 0
                                        ; implicit-def: $sgpr34_sgpr35
                                        ; implicit-def: $sgpr36_sgpr37
                                        ; implicit-def: $sgpr38_sgpr39
                                        ; implicit-def: $sgpr42_sgpr43
	s_waitcnt vmcnt(0)
	v_subrev_u32_e32 v16, s17, v16
	v_mul_lo_u32 v17, v16, s9
	v_and_b32_e32 v17, 0x3fff, v17
	s_branch .LBB38_13
.LBB38_11:                              ;   in Loop: Header=BB38_13 Depth=3
	s_or_b64 exec, exec, s[48:49]
	s_andn2_b64 s[38:39], s[38:39], exec
	s_and_b64 s[42:43], s[46:47], exec
	s_andn2_b64 s[36:37], s[36:37], exec
	s_and_b64 s[0:1], s[0:1], exec
	s_or_b64 s[38:39], s[38:39], s[42:43]
	s_or_b64 s[36:37], s[36:37], s[0:1]
                                        ; implicit-def: $sgpr42_sgpr43
.LBB38_12:                              ;   in Loop: Header=BB38_13 Depth=3
	s_or_b64 exec, exec, s[44:45]
	s_xor_b64 s[0:1], s[36:37], -1
	s_and_b64 s[0:1], exec, s[0:1]
	s_or_b64 s[40:41], s[0:1], s[40:41]
	s_andn2_b64 s[0:1], s[42:43], exec
	s_and_b64 s[44:45], s[38:39], exec
	s_or_b64 s[42:43], s[0:1], s[44:45]
	s_andn2_b64 s[0:1], s[34:35], exec
	s_or_b64 s[34:35], s[0:1], s[44:45]
	s_andn2_b64 exec, exec, s[40:41]
	s_cbranch_execz .LBB38_9
.LBB38_13:                              ;   Parent Loop BB38_7 Depth=1
                                        ;     Parent Loop BB38_10 Depth=2
                                        ; =>    This Inner Loop Header: Depth=3
	v_lshl_add_u32 v18, v17, 2, 0
	ds_read_b32 v19, v18
	s_andn2_b64 s[38:39], s[38:39], exec
	s_andn2_b64 s[36:37], s[36:37], exec
	s_waitcnt lgkmcnt(0)
	v_cmp_ne_u32_e32 vcc, v19, v16
	s_and_saveexec_b64 s[44:45], vcc
	s_cbranch_execz .LBB38_12
; %bb.14:                               ;   in Loop: Header=BB38_13 Depth=3
	v_cmp_ne_u32_e32 vcc, -1, v19
                                        ; implicit-def: $sgpr46_sgpr47
                                        ; implicit-def: $sgpr0_sgpr1
	s_and_saveexec_b64 s[48:49], vcc
	s_xor_b64 s[48:49], exec, s[48:49]
; %bb.15:                               ;   in Loop: Header=BB38_13 Depth=3
	v_add_u32_e32 v17, 1, v17
	v_and_b32_e32 v17, 0x3fff, v17
	s_mov_b64 s[0:1], -1
	s_and_b64 s[46:47], s[42:43], exec
                                        ; implicit-def: $vgpr18
; %bb.16:                               ;   in Loop: Header=BB38_13 Depth=3
	s_andn2_saveexec_b64 s[48:49], s[48:49]
	s_cbranch_execz .LBB38_11
; %bb.17:                               ;   in Loop: Header=BB38_13 Depth=3
	ds_cmpst_rtn_b32 v18, v18, v15, v16
	s_andn2_b64 s[50:51], s[0:1], exec
	s_andn2_b64 s[46:47], s[46:47], exec
	s_waitcnt lgkmcnt(0)
	v_cmp_eq_u32_e64 s[0:1], -1, v18
	v_cmp_ne_u32_e32 vcc, -1, v18
	s_or_b64 s[42:43], s[0:1], s[42:43]
	s_and_b64 s[0:1], vcc, exec
	s_and_b64 s[42:43], s[42:43], exec
	s_or_b64 s[0:1], s[50:51], s[0:1]
	s_or_b64 s[46:47], s[46:47], s[42:43]
	s_branch .LBB38_11
.LBB38_18:
	s_or_b64 exec, exec, s[26:27]
.LBB38_19:
	s_or_b64 exec, exec, s[24:25]
.LBB38_20:
	s_load_dword s0, s[4:5], 0x54
	s_waitcnt lgkmcnt(0)
	s_bfe_u32 s0, s0, 0x10008
	s_cmp_eq_u32 s0, 0
	s_cbranch_scc1 .LBB38_34
; %bb.21:
	s_ashr_i32 s7, s6, 31
	s_lshl_b64 s[0:1], s[6:7], 3
	s_add_u32 s0, s12, s0
	s_addc_u32 s1, s13, s1
	s_load_dwordx4 s[8:11], s[0:1], 0x0
	v_subrev_co_u32_e32 v2, vcc, s18, v1
	v_subb_co_u32_e64 v3, s[0:1], 0, 0, vcc
	s_waitcnt lgkmcnt(0)
	s_sub_u32 s4, s10, s18
	v_mov_b32_e32 v4, s9
	v_add_co_u32_e32 v2, vcc, s8, v2
	s_subb_u32 s5, s11, 0
	v_addc_co_u32_e32 v3, vcc, v3, v4, vcc
	v_cmp_gt_i64_e32 vcc, s[4:5], v[2:3]
	s_and_saveexec_b64 s[8:9], vcc
	s_cbranch_execz .LBB38_33
; %bb.22:
	s_mov_b64 s[10:11], 0
	v_mov_b32_e32 v4, s15
	s_movk_i32 s7, 0x4f
	v_mov_b32_e32 v5, -1
	s_branch .LBB38_24
.LBB38_23:                              ;   in Loop: Header=BB38_24 Depth=1
	s_or_b64 exec, exec, s[22:23]
	v_add_co_u32_e32 v2, vcc, 32, v2
	v_addc_co_u32_e32 v3, vcc, 0, v3, vcc
	v_cndmask_b32_e64 v6, 0, 1, s[12:13]
	v_cmp_le_i64_e32 vcc, s[4:5], v[2:3]
	s_or_b64 s[10:11], vcc, s[10:11]
	v_add_u32_e32 v9, v9, v6
	s_andn2_b64 exec, exec, s[10:11]
	s_cbranch_execz .LBB38_32
.LBB38_24:                              ; =>This Loop Header: Depth=1
                                        ;     Child Loop BB38_27 Depth 2
	v_lshlrev_b64 v[6:7], 2, v[2:3]
	v_add_co_u32_e32 v6, vcc, s14, v6
	v_addc_co_u32_e32 v7, vcc, v4, v7, vcc
	global_load_dword v6, v[6:7], off
	s_mov_b64 s[22:23], 0
                                        ; implicit-def: $sgpr12_sgpr13
                                        ; implicit-def: $sgpr16_sgpr17
                                        ; implicit-def: $sgpr20_sgpr21
                                        ; implicit-def: $sgpr24_sgpr25
	s_waitcnt vmcnt(0)
	v_subrev_u32_e32 v6, s18, v6
	v_mul_lo_u32 v7, v6, s7
	v_and_b32_e32 v7, 0x3fff, v7
	s_branch .LBB38_27
.LBB38_25:                              ;   in Loop: Header=BB38_27 Depth=2
	s_or_b64 exec, exec, s[30:31]
	s_andn2_b64 s[20:21], s[20:21], exec
	s_and_b64 s[24:25], s[28:29], exec
	s_andn2_b64 s[16:17], s[16:17], exec
	s_and_b64 s[0:1], s[0:1], exec
	s_or_b64 s[20:21], s[20:21], s[24:25]
	s_or_b64 s[16:17], s[16:17], s[0:1]
                                        ; implicit-def: $sgpr24_sgpr25
.LBB38_26:                              ;   in Loop: Header=BB38_27 Depth=2
	s_or_b64 exec, exec, s[26:27]
	s_xor_b64 s[0:1], s[16:17], -1
	s_and_b64 s[0:1], exec, s[0:1]
	s_or_b64 s[22:23], s[0:1], s[22:23]
	s_andn2_b64 s[0:1], s[24:25], exec
	s_and_b64 s[26:27], s[20:21], exec
	s_or_b64 s[24:25], s[0:1], s[26:27]
	s_andn2_b64 s[0:1], s[12:13], exec
	s_or_b64 s[12:13], s[0:1], s[26:27]
	s_andn2_b64 exec, exec, s[22:23]
	s_cbranch_execz .LBB38_23
.LBB38_27:                              ;   Parent Loop BB38_24 Depth=1
                                        ; =>  This Inner Loop Header: Depth=2
	v_lshl_add_u32 v10, v7, 2, 0
	ds_read_b32 v11, v10
	s_andn2_b64 s[20:21], s[20:21], exec
	s_andn2_b64 s[16:17], s[16:17], exec
	s_waitcnt lgkmcnt(0)
	v_cmp_ne_u32_e32 vcc, v11, v6
	s_and_saveexec_b64 s[26:27], vcc
	s_cbranch_execz .LBB38_26
; %bb.28:                               ;   in Loop: Header=BB38_27 Depth=2
	v_cmp_ne_u32_e32 vcc, -1, v11
                                        ; implicit-def: $sgpr28_sgpr29
                                        ; implicit-def: $sgpr0_sgpr1
	s_and_saveexec_b64 s[30:31], vcc
	s_xor_b64 s[30:31], exec, s[30:31]
; %bb.29:                               ;   in Loop: Header=BB38_27 Depth=2
	v_add_u32_e32 v7, 1, v7
	v_and_b32_e32 v7, 0x3fff, v7
	s_mov_b64 s[0:1], -1
	s_and_b64 s[28:29], s[24:25], exec
                                        ; implicit-def: $vgpr10
; %bb.30:                               ;   in Loop: Header=BB38_27 Depth=2
	s_andn2_saveexec_b64 s[30:31], s[30:31]
	s_cbranch_execz .LBB38_25
; %bb.31:                               ;   in Loop: Header=BB38_27 Depth=2
	ds_cmpst_rtn_b32 v10, v10, v5, v6
	s_andn2_b64 s[34:35], s[0:1], exec
	s_andn2_b64 s[28:29], s[28:29], exec
	s_waitcnt lgkmcnt(0)
	v_cmp_eq_u32_e64 s[0:1], -1, v10
	v_cmp_ne_u32_e32 vcc, -1, v10
	s_or_b64 s[24:25], s[0:1], s[24:25]
	s_and_b64 s[0:1], vcc, exec
	s_and_b64 s[24:25], s[24:25], exec
	s_or_b64 s[0:1], s[34:35], s[0:1]
	s_or_b64 s[28:29], s[28:29], s[24:25]
	s_branch .LBB38_25
.LBB38_32:
	s_or_b64 exec, exec, s[10:11]
.LBB38_33:
	s_or_b64 exec, exec, s[8:9]
.LBB38_34:
	v_mov_b32_dpp v2, v9 row_shr:1 row_mask:0xf bank_mask:0xf
	v_add_u32_e32 v2, v2, v9
	v_cmp_eq_u32_e32 vcc, 31, v8
	s_nop 0
	v_mov_b32_dpp v3, v2 row_shr:2 row_mask:0xf bank_mask:0xf
	v_add_u32_e32 v2, v2, v3
	s_barrier
	s_nop 0
	v_mov_b32_dpp v3, v2 row_shr:4 row_mask:0xf bank_mask:0xe
	v_add_u32_e32 v2, v2, v3
	s_nop 1
	v_mov_b32_dpp v3, v2 row_shr:8 row_mask:0xf bank_mask:0xc
	v_add_u32_e32 v2, v2, v3
	s_nop 1
	v_mov_b32_dpp v3, v2 row_bcast:15 row_mask:0xa bank_mask:0xf
	s_and_saveexec_b64 s[0:1], vcc
	s_cbranch_execz .LBB38_36
; %bb.35:
	v_lshl_add_u32 v1, v1, 2, 0
	v_add_u32_e32 v2, v2, v3
	ds_write_b32 v1, v2
.LBB38_36:
	s_or_b64 exec, exec, s[0:1]
	v_cmp_gt_u32_e32 vcc, 32, v0
	v_mov_b32_e32 v1, 0
	s_waitcnt lgkmcnt(0)
	s_barrier
	s_and_saveexec_b64 s[0:1], vcc
	s_cbranch_execz .LBB38_38
; %bb.37:
	v_lshl_add_u32 v1, v0, 2, 0
	ds_read_b32 v1, v1
.LBB38_38:
	s_or_b64 exec, exec, s[0:1]
	s_waitcnt lgkmcnt(0)
	v_mov_b32_dpp v2, v1 row_shr:1 row_mask:0xf bank_mask:0xf
	v_add_u32_e32 v1, v2, v1
	v_cmp_eq_u32_e32 vcc, 31, v0
	s_nop 0
	v_mov_b32_dpp v2, v1 row_shr:2 row_mask:0xf bank_mask:0xf
	v_add_u32_e32 v1, v1, v2
	s_nop 1
	v_mov_b32_dpp v2, v1 row_shr:4 row_mask:0xf bank_mask:0xe
	v_add_u32_e32 v1, v1, v2
	;; [unrolled: 3-line block ×3, first 2 shown]
	s_nop 1
	v_mov_b32_dpp v2, v1 row_bcast:15 row_mask:0xa bank_mask:0xf
	s_and_saveexec_b64 s[0:1], vcc
	s_cbranch_execz .LBB38_40
; %bb.39:
	s_ashr_i32 s7, s6, 31
	s_lshl_b64 s[0:1], s[6:7], 3
	s_add_u32 s0, s2, s0
	v_add_u32_e32 v0, v1, v2
	s_addc_u32 s1, s3, s1
	v_mov_b32_e32 v3, 0
	v_ashrrev_i32_e32 v1, 31, v0
	global_store_dwordx2 v3, v[0:1], s[0:1]
.LBB38_40:
	s_endpgm
	.section	.rodata,"a",@progbits
	.p2align	6, 0x0
	.amdhsa_kernel _ZN9rocsparseL25csrgemm_nnz_block_per_rowILj1024ELj32ELj16384ELj79EliEEvPKT4_S3_PKT3_S3_S6_S3_S6_S3_PS4_21rocsparse_index_base_S8_S8_bb
		.amdhsa_group_segment_fixed_size 0
		.amdhsa_private_segment_fixed_size 0
		.amdhsa_kernarg_size 88
		.amdhsa_user_sgpr_count 6
		.amdhsa_user_sgpr_private_segment_buffer 1
		.amdhsa_user_sgpr_dispatch_ptr 0
		.amdhsa_user_sgpr_queue_ptr 0
		.amdhsa_user_sgpr_kernarg_segment_ptr 1
		.amdhsa_user_sgpr_dispatch_id 0
		.amdhsa_user_sgpr_flat_scratch_init 0
		.amdhsa_user_sgpr_kernarg_preload_length 0
		.amdhsa_user_sgpr_kernarg_preload_offset 0
		.amdhsa_user_sgpr_private_segment_size 0
		.amdhsa_uses_dynamic_stack 0
		.amdhsa_system_sgpr_private_segment_wavefront_offset 0
		.amdhsa_system_sgpr_workgroup_id_x 1
		.amdhsa_system_sgpr_workgroup_id_y 0
		.amdhsa_system_sgpr_workgroup_id_z 0
		.amdhsa_system_sgpr_workgroup_info 0
		.amdhsa_system_vgpr_workitem_id 0
		.amdhsa_next_free_vgpr 20
		.amdhsa_next_free_sgpr 52
		.amdhsa_accum_offset 20
		.amdhsa_reserve_vcc 1
		.amdhsa_reserve_flat_scratch 0
		.amdhsa_float_round_mode_32 0
		.amdhsa_float_round_mode_16_64 0
		.amdhsa_float_denorm_mode_32 3
		.amdhsa_float_denorm_mode_16_64 3
		.amdhsa_dx10_clamp 1
		.amdhsa_ieee_mode 1
		.amdhsa_fp16_overflow 0
		.amdhsa_tg_split 0
		.amdhsa_exception_fp_ieee_invalid_op 0
		.amdhsa_exception_fp_denorm_src 0
		.amdhsa_exception_fp_ieee_div_zero 0
		.amdhsa_exception_fp_ieee_overflow 0
		.amdhsa_exception_fp_ieee_underflow 0
		.amdhsa_exception_fp_ieee_inexact 0
		.amdhsa_exception_int_div_zero 0
	.end_amdhsa_kernel
	.section	.text._ZN9rocsparseL25csrgemm_nnz_block_per_rowILj1024ELj32ELj16384ELj79EliEEvPKT4_S3_PKT3_S3_S6_S3_S6_S3_PS4_21rocsparse_index_base_S8_S8_bb,"axG",@progbits,_ZN9rocsparseL25csrgemm_nnz_block_per_rowILj1024ELj32ELj16384ELj79EliEEvPKT4_S3_PKT3_S3_S6_S3_S6_S3_PS4_21rocsparse_index_base_S8_S8_bb,comdat
.Lfunc_end38:
	.size	_ZN9rocsparseL25csrgemm_nnz_block_per_rowILj1024ELj32ELj16384ELj79EliEEvPKT4_S3_PKT3_S3_S6_S3_S6_S3_PS4_21rocsparse_index_base_S8_S8_bb, .Lfunc_end38-_ZN9rocsparseL25csrgemm_nnz_block_per_rowILj1024ELj32ELj16384ELj79EliEEvPKT4_S3_PKT3_S3_S6_S3_S6_S3_PS4_21rocsparse_index_base_S8_S8_bb
                                        ; -- End function
	.section	.AMDGPU.csdata,"",@progbits
; Kernel info:
; codeLenInByte = 1476
; NumSgprs: 56
; NumVgprs: 20
; NumAgprs: 0
; TotalNumVgprs: 20
; ScratchSize: 0
; MemoryBound: 0
; FloatMode: 240
; IeeeMode: 1
; LDSByteSize: 0 bytes/workgroup (compile time only)
; SGPRBlocks: 6
; VGPRBlocks: 2
; NumSGPRsForWavesPerEU: 56
; NumVGPRsForWavesPerEU: 20
; AccumOffset: 20
; Occupancy: 8
; WaveLimiterHint : 1
; COMPUTE_PGM_RSRC2:SCRATCH_EN: 0
; COMPUTE_PGM_RSRC2:USER_SGPR: 6
; COMPUTE_PGM_RSRC2:TRAP_HANDLER: 0
; COMPUTE_PGM_RSRC2:TGID_X_EN: 1
; COMPUTE_PGM_RSRC2:TGID_Y_EN: 0
; COMPUTE_PGM_RSRC2:TGID_Z_EN: 0
; COMPUTE_PGM_RSRC2:TIDIG_COMP_CNT: 0
; COMPUTE_PGM_RSRC3_GFX90A:ACCUM_OFFSET: 4
; COMPUTE_PGM_RSRC3_GFX90A:TG_SPLIT: 0
	.section	.text._ZN9rocsparseL25csrgemm_nnz_block_per_rowILj1024ELj32ELj32768ELj79EliEEvPKT4_S3_PKT3_S3_S6_S3_S6_S3_PS4_21rocsparse_index_base_S8_S8_bb,"axG",@progbits,_ZN9rocsparseL25csrgemm_nnz_block_per_rowILj1024ELj32ELj32768ELj79EliEEvPKT4_S3_PKT3_S3_S6_S3_S6_S3_PS4_21rocsparse_index_base_S8_S8_bb,comdat
	.globl	_ZN9rocsparseL25csrgemm_nnz_block_per_rowILj1024ELj32ELj32768ELj79EliEEvPKT4_S3_PKT3_S3_S6_S3_S6_S3_PS4_21rocsparse_index_base_S8_S8_bb ; -- Begin function _ZN9rocsparseL25csrgemm_nnz_block_per_rowILj1024ELj32ELj32768ELj79EliEEvPKT4_S3_PKT3_S3_S6_S3_S6_S3_PS4_21rocsparse_index_base_S8_S8_bb
	.p2align	8
	.type	_ZN9rocsparseL25csrgemm_nnz_block_per_rowILj1024ELj32ELj32768ELj79EliEEvPKT4_S3_PKT3_S3_S6_S3_S6_S3_PS4_21rocsparse_index_base_S8_S8_bb,@function
_ZN9rocsparseL25csrgemm_nnz_block_per_rowILj1024ELj32ELj32768ELj79EliEEvPKT4_S3_PKT3_S3_S6_S3_S6_S3_PS4_21rocsparse_index_base_S8_S8_bb: ; @_ZN9rocsparseL25csrgemm_nnz_block_per_rowILj1024ELj32ELj32768ELj79EliEEvPKT4_S3_PKT3_S3_S6_S3_S6_S3_PS4_21rocsparse_index_base_S8_S8_bb
; %bb.0:
	s_load_dwordx8 s[16:23], s[4:5], 0x0
	s_mov_b32 s1, 0
	v_or_b32_e32 v1, 0xfffffc00, v0
	v_lshl_add_u32 v2, v0, 2, 0
	v_mov_b32_e32 v3, -1
	s_waitcnt lgkmcnt(0)
	s_load_dword s0, s[16:17], 0x0
	s_load_dwordx2 s[2:3], s[4:5], 0x40
	s_load_dwordx8 s[8:15], s[4:5], 0x20
	s_movk_i32 s7, 0x7bff
	s_waitcnt lgkmcnt(0)
	s_add_i32 s0, s0, s6
	s_lshl_b64 s[0:1], s[0:1], 2
	s_add_u32 s0, s18, s0
	s_addc_u32 s1, s19, s1
	s_load_dword s6, s[0:1], 0x0
	s_mov_b64 s[0:1], 0
.LBB39_1:                               ; =>This Inner Loop Header: Depth=1
	v_add_u32_e32 v1, 0x400, v1
	v_cmp_lt_u32_e32 vcc, s7, v1
	ds_write_b32 v2, v3
	s_or_b64 s[0:1], vcc, s[0:1]
	v_add_u32_e32 v2, 0x1000, v2
	s_andn2_b64 exec, exec, s[0:1]
	s_cbranch_execnz .LBB39_1
; %bb.2:
	s_or_b64 exec, exec, s[0:1]
	s_load_dwordx4 s[16:19], s[4:5], 0x48
	v_and_b32_e32 v8, 31, v0
	v_lshrrev_b32_e32 v1, 5, v0
	v_mov_b32_e32 v9, 0
	s_waitcnt lgkmcnt(0)
	s_bitcmp1_b32 s19, 0
	s_cselect_b64 s[0:1], -1, 0
	s_and_b64 vcc, exec, s[0:1]
	s_barrier
	s_cbranch_vccz .LBB39_20
; %bb.3:
	s_ashr_i32 s7, s6, 31
	s_lshl_b64 s[0:1], s[6:7], 3
	s_add_u32 s0, s20, s0
	s_addc_u32 s1, s21, s1
	s_load_dwordx4 s[24:27], s[0:1], 0x0
	v_subrev_co_u32_e32 v2, vcc, s16, v1
	s_mov_b32 s0, 0
	v_mov_b32_e32 v9, 0
	s_waitcnt lgkmcnt(0)
	s_sub_u32 s20, s26, s16
	s_subb_u32 s21, s27, 0
	v_subb_co_u32_e64 v3, s[26:27], 0, 0, vcc
	v_mov_b32_e32 v4, s25
	v_add_co_u32_e32 v2, vcc, s24, v2
	v_addc_co_u32_e32 v3, vcc, v3, v4, vcc
	v_cmp_gt_i64_e32 vcc, s[20:21], v[2:3]
	s_and_saveexec_b64 s[24:25], vcc
	s_cbranch_execz .LBB39_19
; %bb.4:
	v_subrev_co_u32_e32 v10, vcc, s17, v8
	v_subb_co_u32_e64 v11, s[26:27], 0, 0, vcc
	s_mov_b32 s7, s17
	s_mov_b64 s[26:27], 0
	v_mov_b32_e32 v9, 0
	v_mov_b32_e32 v12, s23
	;; [unrolled: 1-line block ×4, first 2 shown]
	s_movk_i32 s9, 0x4f
	v_mov_b32_e32 v15, -1
	s_branch .LBB39_7
.LBB39_5:                               ;   in Loop: Header=BB39_7 Depth=1
	s_or_b64 exec, exec, s[30:31]
.LBB39_6:                               ;   in Loop: Header=BB39_7 Depth=1
	s_or_b64 exec, exec, s[28:29]
	v_add_co_u32_e32 v2, vcc, 32, v2
	v_addc_co_u32_e32 v3, vcc, 0, v3, vcc
	v_cmp_le_i64_e32 vcc, s[20:21], v[2:3]
	s_or_b64 s[26:27], vcc, s[26:27]
	s_andn2_b64 exec, exec, s[26:27]
	s_cbranch_execz .LBB39_18
.LBB39_7:                               ; =>This Loop Header: Depth=1
                                        ;     Child Loop BB39_10 Depth 2
                                        ;       Child Loop BB39_13 Depth 3
	v_lshlrev_b64 v[4:5], 2, v[2:3]
	v_add_co_u32_e32 v4, vcc, s22, v4
	v_addc_co_u32_e32 v5, vcc, v12, v5, vcc
	global_load_dword v4, v[4:5], off
	s_waitcnt vmcnt(0)
	v_subrev_u32_e32 v4, s16, v4
	v_ashrrev_i32_e32 v5, 31, v4
	v_lshlrev_b64 v[4:5], 3, v[4:5]
	v_add_co_u32_e32 v4, vcc, s8, v4
	v_addc_co_u32_e32 v5, vcc, v13, v5, vcc
	global_load_dwordx4 v[16:19], v[4:5], off
	s_waitcnt vmcnt(0)
	v_subrev_co_u32_e32 v4, vcc, s7, v18
	v_subb_co_u32_e32 v5, vcc, v19, v14, vcc
	v_add_co_u32_e32 v6, vcc, v10, v16
	v_addc_co_u32_e32 v7, vcc, v11, v17, vcc
	v_cmp_lt_i64_e32 vcc, v[6:7], v[4:5]
	s_and_saveexec_b64 s[28:29], vcc
	s_cbranch_execz .LBB39_6
; %bb.8:                                ;   in Loop: Header=BB39_7 Depth=1
	s_mov_b64 s[30:31], 0
	s_branch .LBB39_10
.LBB39_9:                               ;   in Loop: Header=BB39_10 Depth=2
	s_or_b64 exec, exec, s[40:41]
	v_add_co_u32_e32 v6, vcc, 32, v6
	v_addc_co_u32_e32 v7, vcc, 0, v7, vcc
	v_cndmask_b32_e64 v16, 0, 1, s[34:35]
	v_cmp_ge_i64_e32 vcc, v[6:7], v[4:5]
	s_or_b64 s[30:31], vcc, s[30:31]
	v_add_u32_e32 v9, v9, v16
	s_andn2_b64 exec, exec, s[30:31]
	s_cbranch_execz .LBB39_5
.LBB39_10:                              ;   Parent Loop BB39_7 Depth=1
                                        ; =>  This Loop Header: Depth=2
                                        ;       Child Loop BB39_13 Depth 3
	v_lshlrev_b64 v[16:17], 2, v[6:7]
	v_mov_b32_e32 v18, s11
	v_add_co_u32_e32 v16, vcc, s10, v16
	v_addc_co_u32_e32 v17, vcc, v18, v17, vcc
	global_load_dword v16, v[16:17], off
	s_mov_b64 s[40:41], 0
                                        ; implicit-def: $sgpr34_sgpr35
                                        ; implicit-def: $sgpr36_sgpr37
                                        ; implicit-def: $sgpr38_sgpr39
                                        ; implicit-def: $sgpr42_sgpr43
	s_waitcnt vmcnt(0)
	v_subrev_u32_e32 v16, s17, v16
	v_mul_lo_u32 v17, v16, s9
	v_and_b32_e32 v17, 0x7fff, v17
	s_branch .LBB39_13
.LBB39_11:                              ;   in Loop: Header=BB39_13 Depth=3
	s_or_b64 exec, exec, s[48:49]
	s_andn2_b64 s[38:39], s[38:39], exec
	s_and_b64 s[42:43], s[46:47], exec
	s_andn2_b64 s[36:37], s[36:37], exec
	s_and_b64 s[0:1], s[0:1], exec
	s_or_b64 s[38:39], s[38:39], s[42:43]
	s_or_b64 s[36:37], s[36:37], s[0:1]
                                        ; implicit-def: $sgpr42_sgpr43
.LBB39_12:                              ;   in Loop: Header=BB39_13 Depth=3
	s_or_b64 exec, exec, s[44:45]
	s_xor_b64 s[0:1], s[36:37], -1
	s_and_b64 s[0:1], exec, s[0:1]
	s_or_b64 s[40:41], s[0:1], s[40:41]
	s_andn2_b64 s[0:1], s[42:43], exec
	s_and_b64 s[44:45], s[38:39], exec
	s_or_b64 s[42:43], s[0:1], s[44:45]
	s_andn2_b64 s[0:1], s[34:35], exec
	s_or_b64 s[34:35], s[0:1], s[44:45]
	s_andn2_b64 exec, exec, s[40:41]
	s_cbranch_execz .LBB39_9
.LBB39_13:                              ;   Parent Loop BB39_7 Depth=1
                                        ;     Parent Loop BB39_10 Depth=2
                                        ; =>    This Inner Loop Header: Depth=3
	v_lshl_add_u32 v18, v17, 2, 0
	ds_read_b32 v19, v18
	s_andn2_b64 s[38:39], s[38:39], exec
	s_andn2_b64 s[36:37], s[36:37], exec
	s_waitcnt lgkmcnt(0)
	v_cmp_ne_u32_e32 vcc, v19, v16
	s_and_saveexec_b64 s[44:45], vcc
	s_cbranch_execz .LBB39_12
; %bb.14:                               ;   in Loop: Header=BB39_13 Depth=3
	v_cmp_ne_u32_e32 vcc, -1, v19
                                        ; implicit-def: $sgpr46_sgpr47
                                        ; implicit-def: $sgpr0_sgpr1
	s_and_saveexec_b64 s[48:49], vcc
	s_xor_b64 s[48:49], exec, s[48:49]
; %bb.15:                               ;   in Loop: Header=BB39_13 Depth=3
	v_add_u32_e32 v17, 1, v17
	v_and_b32_e32 v17, 0x7fff, v17
	s_mov_b64 s[0:1], -1
	s_and_b64 s[46:47], s[42:43], exec
                                        ; implicit-def: $vgpr18
; %bb.16:                               ;   in Loop: Header=BB39_13 Depth=3
	s_andn2_saveexec_b64 s[48:49], s[48:49]
	s_cbranch_execz .LBB39_11
; %bb.17:                               ;   in Loop: Header=BB39_13 Depth=3
	ds_cmpst_rtn_b32 v18, v18, v15, v16
	s_andn2_b64 s[50:51], s[0:1], exec
	s_andn2_b64 s[46:47], s[46:47], exec
	s_waitcnt lgkmcnt(0)
	v_cmp_eq_u32_e64 s[0:1], -1, v18
	v_cmp_ne_u32_e32 vcc, -1, v18
	s_or_b64 s[42:43], s[0:1], s[42:43]
	s_and_b64 s[0:1], vcc, exec
	s_and_b64 s[42:43], s[42:43], exec
	s_or_b64 s[0:1], s[50:51], s[0:1]
	s_or_b64 s[46:47], s[46:47], s[42:43]
	s_branch .LBB39_11
.LBB39_18:
	s_or_b64 exec, exec, s[26:27]
.LBB39_19:
	s_or_b64 exec, exec, s[24:25]
.LBB39_20:
	s_load_dword s0, s[4:5], 0x54
	s_waitcnt lgkmcnt(0)
	s_bfe_u32 s0, s0, 0x10008
	s_cmp_eq_u32 s0, 0
	s_cbranch_scc1 .LBB39_34
; %bb.21:
	s_ashr_i32 s7, s6, 31
	s_lshl_b64 s[0:1], s[6:7], 3
	s_add_u32 s0, s12, s0
	s_addc_u32 s1, s13, s1
	s_load_dwordx4 s[8:11], s[0:1], 0x0
	v_subrev_co_u32_e32 v2, vcc, s18, v1
	v_subb_co_u32_e64 v3, s[0:1], 0, 0, vcc
	s_waitcnt lgkmcnt(0)
	s_sub_u32 s4, s10, s18
	v_mov_b32_e32 v4, s9
	v_add_co_u32_e32 v2, vcc, s8, v2
	s_subb_u32 s5, s11, 0
	v_addc_co_u32_e32 v3, vcc, v3, v4, vcc
	v_cmp_gt_i64_e32 vcc, s[4:5], v[2:3]
	s_and_saveexec_b64 s[8:9], vcc
	s_cbranch_execz .LBB39_33
; %bb.22:
	s_mov_b64 s[10:11], 0
	v_mov_b32_e32 v4, s15
	s_movk_i32 s7, 0x4f
	v_mov_b32_e32 v5, -1
	s_branch .LBB39_24
.LBB39_23:                              ;   in Loop: Header=BB39_24 Depth=1
	s_or_b64 exec, exec, s[22:23]
	v_add_co_u32_e32 v2, vcc, 32, v2
	v_addc_co_u32_e32 v3, vcc, 0, v3, vcc
	v_cndmask_b32_e64 v6, 0, 1, s[12:13]
	v_cmp_le_i64_e32 vcc, s[4:5], v[2:3]
	s_or_b64 s[10:11], vcc, s[10:11]
	v_add_u32_e32 v9, v9, v6
	s_andn2_b64 exec, exec, s[10:11]
	s_cbranch_execz .LBB39_32
.LBB39_24:                              ; =>This Loop Header: Depth=1
                                        ;     Child Loop BB39_27 Depth 2
	v_lshlrev_b64 v[6:7], 2, v[2:3]
	v_add_co_u32_e32 v6, vcc, s14, v6
	v_addc_co_u32_e32 v7, vcc, v4, v7, vcc
	global_load_dword v6, v[6:7], off
	s_mov_b64 s[22:23], 0
                                        ; implicit-def: $sgpr12_sgpr13
                                        ; implicit-def: $sgpr16_sgpr17
                                        ; implicit-def: $sgpr20_sgpr21
                                        ; implicit-def: $sgpr24_sgpr25
	s_waitcnt vmcnt(0)
	v_subrev_u32_e32 v6, s18, v6
	v_mul_lo_u32 v7, v6, s7
	v_and_b32_e32 v7, 0x7fff, v7
	s_branch .LBB39_27
.LBB39_25:                              ;   in Loop: Header=BB39_27 Depth=2
	s_or_b64 exec, exec, s[30:31]
	s_andn2_b64 s[20:21], s[20:21], exec
	s_and_b64 s[24:25], s[28:29], exec
	s_andn2_b64 s[16:17], s[16:17], exec
	s_and_b64 s[0:1], s[0:1], exec
	s_or_b64 s[20:21], s[20:21], s[24:25]
	s_or_b64 s[16:17], s[16:17], s[0:1]
                                        ; implicit-def: $sgpr24_sgpr25
.LBB39_26:                              ;   in Loop: Header=BB39_27 Depth=2
	s_or_b64 exec, exec, s[26:27]
	s_xor_b64 s[0:1], s[16:17], -1
	s_and_b64 s[0:1], exec, s[0:1]
	s_or_b64 s[22:23], s[0:1], s[22:23]
	s_andn2_b64 s[0:1], s[24:25], exec
	s_and_b64 s[26:27], s[20:21], exec
	s_or_b64 s[24:25], s[0:1], s[26:27]
	s_andn2_b64 s[0:1], s[12:13], exec
	s_or_b64 s[12:13], s[0:1], s[26:27]
	s_andn2_b64 exec, exec, s[22:23]
	s_cbranch_execz .LBB39_23
.LBB39_27:                              ;   Parent Loop BB39_24 Depth=1
                                        ; =>  This Inner Loop Header: Depth=2
	v_lshl_add_u32 v10, v7, 2, 0
	ds_read_b32 v11, v10
	s_andn2_b64 s[20:21], s[20:21], exec
	s_andn2_b64 s[16:17], s[16:17], exec
	s_waitcnt lgkmcnt(0)
	v_cmp_ne_u32_e32 vcc, v11, v6
	s_and_saveexec_b64 s[26:27], vcc
	s_cbranch_execz .LBB39_26
; %bb.28:                               ;   in Loop: Header=BB39_27 Depth=2
	v_cmp_ne_u32_e32 vcc, -1, v11
                                        ; implicit-def: $sgpr28_sgpr29
                                        ; implicit-def: $sgpr0_sgpr1
	s_and_saveexec_b64 s[30:31], vcc
	s_xor_b64 s[30:31], exec, s[30:31]
; %bb.29:                               ;   in Loop: Header=BB39_27 Depth=2
	v_add_u32_e32 v7, 1, v7
	v_and_b32_e32 v7, 0x7fff, v7
	s_mov_b64 s[0:1], -1
	s_and_b64 s[28:29], s[24:25], exec
                                        ; implicit-def: $vgpr10
; %bb.30:                               ;   in Loop: Header=BB39_27 Depth=2
	s_andn2_saveexec_b64 s[30:31], s[30:31]
	s_cbranch_execz .LBB39_25
; %bb.31:                               ;   in Loop: Header=BB39_27 Depth=2
	ds_cmpst_rtn_b32 v10, v10, v5, v6
	s_andn2_b64 s[34:35], s[0:1], exec
	s_andn2_b64 s[28:29], s[28:29], exec
	s_waitcnt lgkmcnt(0)
	v_cmp_eq_u32_e64 s[0:1], -1, v10
	v_cmp_ne_u32_e32 vcc, -1, v10
	s_or_b64 s[24:25], s[0:1], s[24:25]
	s_and_b64 s[0:1], vcc, exec
	s_and_b64 s[24:25], s[24:25], exec
	s_or_b64 s[0:1], s[34:35], s[0:1]
	s_or_b64 s[28:29], s[28:29], s[24:25]
	s_branch .LBB39_25
.LBB39_32:
	s_or_b64 exec, exec, s[10:11]
.LBB39_33:
	s_or_b64 exec, exec, s[8:9]
.LBB39_34:
	v_mov_b32_dpp v2, v9 row_shr:1 row_mask:0xf bank_mask:0xf
	v_add_u32_e32 v2, v2, v9
	v_cmp_eq_u32_e32 vcc, 31, v8
	s_nop 0
	v_mov_b32_dpp v3, v2 row_shr:2 row_mask:0xf bank_mask:0xf
	v_add_u32_e32 v2, v2, v3
	s_barrier
	s_nop 0
	v_mov_b32_dpp v3, v2 row_shr:4 row_mask:0xf bank_mask:0xe
	v_add_u32_e32 v2, v2, v3
	s_nop 1
	v_mov_b32_dpp v3, v2 row_shr:8 row_mask:0xf bank_mask:0xc
	v_add_u32_e32 v2, v2, v3
	s_nop 1
	v_mov_b32_dpp v3, v2 row_bcast:15 row_mask:0xa bank_mask:0xf
	s_and_saveexec_b64 s[0:1], vcc
	s_cbranch_execz .LBB39_36
; %bb.35:
	v_lshl_add_u32 v1, v1, 2, 0
	v_add_u32_e32 v2, v2, v3
	ds_write_b32 v1, v2
.LBB39_36:
	s_or_b64 exec, exec, s[0:1]
	v_cmp_gt_u32_e32 vcc, 32, v0
	v_mov_b32_e32 v1, 0
	s_waitcnt lgkmcnt(0)
	s_barrier
	s_and_saveexec_b64 s[0:1], vcc
	s_cbranch_execz .LBB39_38
; %bb.37:
	v_lshl_add_u32 v1, v0, 2, 0
	ds_read_b32 v1, v1
.LBB39_38:
	s_or_b64 exec, exec, s[0:1]
	s_waitcnt lgkmcnt(0)
	v_mov_b32_dpp v2, v1 row_shr:1 row_mask:0xf bank_mask:0xf
	v_add_u32_e32 v1, v2, v1
	v_cmp_eq_u32_e32 vcc, 31, v0
	s_nop 0
	v_mov_b32_dpp v2, v1 row_shr:2 row_mask:0xf bank_mask:0xf
	v_add_u32_e32 v1, v1, v2
	s_nop 1
	v_mov_b32_dpp v2, v1 row_shr:4 row_mask:0xf bank_mask:0xe
	v_add_u32_e32 v1, v1, v2
	;; [unrolled: 3-line block ×3, first 2 shown]
	s_nop 1
	v_mov_b32_dpp v2, v1 row_bcast:15 row_mask:0xa bank_mask:0xf
	s_and_saveexec_b64 s[0:1], vcc
	s_cbranch_execz .LBB39_40
; %bb.39:
	s_ashr_i32 s7, s6, 31
	s_lshl_b64 s[0:1], s[6:7], 3
	s_add_u32 s0, s2, s0
	v_add_u32_e32 v0, v1, v2
	s_addc_u32 s1, s3, s1
	v_mov_b32_e32 v3, 0
	v_ashrrev_i32_e32 v1, 31, v0
	global_store_dwordx2 v3, v[0:1], s[0:1]
.LBB39_40:
	s_endpgm
	.section	.rodata,"a",@progbits
	.p2align	6, 0x0
	.amdhsa_kernel _ZN9rocsparseL25csrgemm_nnz_block_per_rowILj1024ELj32ELj32768ELj79EliEEvPKT4_S3_PKT3_S3_S6_S3_S6_S3_PS4_21rocsparse_index_base_S8_S8_bb
		.amdhsa_group_segment_fixed_size 0
		.amdhsa_private_segment_fixed_size 0
		.amdhsa_kernarg_size 88
		.amdhsa_user_sgpr_count 6
		.amdhsa_user_sgpr_private_segment_buffer 1
		.amdhsa_user_sgpr_dispatch_ptr 0
		.amdhsa_user_sgpr_queue_ptr 0
		.amdhsa_user_sgpr_kernarg_segment_ptr 1
		.amdhsa_user_sgpr_dispatch_id 0
		.amdhsa_user_sgpr_flat_scratch_init 0
		.amdhsa_user_sgpr_kernarg_preload_length 0
		.amdhsa_user_sgpr_kernarg_preload_offset 0
		.amdhsa_user_sgpr_private_segment_size 0
		.amdhsa_uses_dynamic_stack 0
		.amdhsa_system_sgpr_private_segment_wavefront_offset 0
		.amdhsa_system_sgpr_workgroup_id_x 1
		.amdhsa_system_sgpr_workgroup_id_y 0
		.amdhsa_system_sgpr_workgroup_id_z 0
		.amdhsa_system_sgpr_workgroup_info 0
		.amdhsa_system_vgpr_workitem_id 0
		.amdhsa_next_free_vgpr 20
		.amdhsa_next_free_sgpr 52
		.amdhsa_accum_offset 20
		.amdhsa_reserve_vcc 1
		.amdhsa_reserve_flat_scratch 0
		.amdhsa_float_round_mode_32 0
		.amdhsa_float_round_mode_16_64 0
		.amdhsa_float_denorm_mode_32 3
		.amdhsa_float_denorm_mode_16_64 3
		.amdhsa_dx10_clamp 1
		.amdhsa_ieee_mode 1
		.amdhsa_fp16_overflow 0
		.amdhsa_tg_split 0
		.amdhsa_exception_fp_ieee_invalid_op 0
		.amdhsa_exception_fp_denorm_src 0
		.amdhsa_exception_fp_ieee_div_zero 0
		.amdhsa_exception_fp_ieee_overflow 0
		.amdhsa_exception_fp_ieee_underflow 0
		.amdhsa_exception_fp_ieee_inexact 0
		.amdhsa_exception_int_div_zero 0
	.end_amdhsa_kernel
	.section	.text._ZN9rocsparseL25csrgemm_nnz_block_per_rowILj1024ELj32ELj32768ELj79EliEEvPKT4_S3_PKT3_S3_S6_S3_S6_S3_PS4_21rocsparse_index_base_S8_S8_bb,"axG",@progbits,_ZN9rocsparseL25csrgemm_nnz_block_per_rowILj1024ELj32ELj32768ELj79EliEEvPKT4_S3_PKT3_S3_S6_S3_S6_S3_PS4_21rocsparse_index_base_S8_S8_bb,comdat
.Lfunc_end39:
	.size	_ZN9rocsparseL25csrgemm_nnz_block_per_rowILj1024ELj32ELj32768ELj79EliEEvPKT4_S3_PKT3_S3_S6_S3_S6_S3_PS4_21rocsparse_index_base_S8_S8_bb, .Lfunc_end39-_ZN9rocsparseL25csrgemm_nnz_block_per_rowILj1024ELj32ELj32768ELj79EliEEvPKT4_S3_PKT3_S3_S6_S3_S6_S3_PS4_21rocsparse_index_base_S8_S8_bb
                                        ; -- End function
	.section	.AMDGPU.csdata,"",@progbits
; Kernel info:
; codeLenInByte = 1476
; NumSgprs: 56
; NumVgprs: 20
; NumAgprs: 0
; TotalNumVgprs: 20
; ScratchSize: 0
; MemoryBound: 0
; FloatMode: 240
; IeeeMode: 1
; LDSByteSize: 0 bytes/workgroup (compile time only)
; SGPRBlocks: 6
; VGPRBlocks: 2
; NumSGPRsForWavesPerEU: 56
; NumVGPRsForWavesPerEU: 20
; AccumOffset: 20
; Occupancy: 8
; WaveLimiterHint : 1
; COMPUTE_PGM_RSRC2:SCRATCH_EN: 0
; COMPUTE_PGM_RSRC2:USER_SGPR: 6
; COMPUTE_PGM_RSRC2:TRAP_HANDLER: 0
; COMPUTE_PGM_RSRC2:TGID_X_EN: 1
; COMPUTE_PGM_RSRC2:TGID_Y_EN: 0
; COMPUTE_PGM_RSRC2:TGID_Z_EN: 0
; COMPUTE_PGM_RSRC2:TIDIG_COMP_CNT: 0
; COMPUTE_PGM_RSRC3_GFX90A:ACCUM_OFFSET: 4
; COMPUTE_PGM_RSRC3_GFX90A:TG_SPLIT: 0
	.section	.text._ZN9rocsparseL25csrgemm_nnz_block_per_rowILj1024ELj32ELj65536ELj79EliEEvPKT4_S3_PKT3_S3_S6_S3_S6_S3_PS4_21rocsparse_index_base_S8_S8_bb,"axG",@progbits,_ZN9rocsparseL25csrgemm_nnz_block_per_rowILj1024ELj32ELj65536ELj79EliEEvPKT4_S3_PKT3_S3_S6_S3_S6_S3_PS4_21rocsparse_index_base_S8_S8_bb,comdat
	.globl	_ZN9rocsparseL25csrgemm_nnz_block_per_rowILj1024ELj32ELj65536ELj79EliEEvPKT4_S3_PKT3_S3_S6_S3_S6_S3_PS4_21rocsparse_index_base_S8_S8_bb ; -- Begin function _ZN9rocsparseL25csrgemm_nnz_block_per_rowILj1024ELj32ELj65536ELj79EliEEvPKT4_S3_PKT3_S3_S6_S3_S6_S3_PS4_21rocsparse_index_base_S8_S8_bb
	.p2align	8
	.type	_ZN9rocsparseL25csrgemm_nnz_block_per_rowILj1024ELj32ELj65536ELj79EliEEvPKT4_S3_PKT3_S3_S6_S3_S6_S3_PS4_21rocsparse_index_base_S8_S8_bb,@function
_ZN9rocsparseL25csrgemm_nnz_block_per_rowILj1024ELj32ELj65536ELj79EliEEvPKT4_S3_PKT3_S3_S6_S3_S6_S3_PS4_21rocsparse_index_base_S8_S8_bb: ; @_ZN9rocsparseL25csrgemm_nnz_block_per_rowILj1024ELj32ELj65536ELj79EliEEvPKT4_S3_PKT3_S3_S6_S3_S6_S3_PS4_21rocsparse_index_base_S8_S8_bb
; %bb.0:
	s_load_dwordx8 s[16:23], s[4:5], 0x0
	s_mov_b32 s1, 0
	v_or_b32_e32 v1, 0xfffffc00, v0
	v_lshl_add_u32 v2, v0, 2, 0
	v_mov_b32_e32 v3, -1
	s_waitcnt lgkmcnt(0)
	s_load_dword s0, s[16:17], 0x0
	s_load_dwordx2 s[2:3], s[4:5], 0x40
	s_load_dwordx8 s[8:15], s[4:5], 0x20
	s_mov_b32 s7, 0xfbff
	s_waitcnt lgkmcnt(0)
	s_add_i32 s0, s0, s6
	s_lshl_b64 s[0:1], s[0:1], 2
	s_add_u32 s0, s18, s0
	s_addc_u32 s1, s19, s1
	s_load_dword s6, s[0:1], 0x0
	s_mov_b64 s[0:1], 0
.LBB40_1:                               ; =>This Inner Loop Header: Depth=1
	v_add_u32_e32 v1, 0x400, v1
	v_cmp_lt_u32_e32 vcc, s7, v1
	ds_write_b32 v2, v3
	s_or_b64 s[0:1], vcc, s[0:1]
	v_add_u32_e32 v2, 0x1000, v2
	s_andn2_b64 exec, exec, s[0:1]
	s_cbranch_execnz .LBB40_1
; %bb.2:
	s_or_b64 exec, exec, s[0:1]
	s_load_dwordx4 s[16:19], s[4:5], 0x48
	v_and_b32_e32 v8, 31, v0
	v_lshrrev_b32_e32 v1, 5, v0
	v_mov_b32_e32 v9, 0
	s_waitcnt lgkmcnt(0)
	s_bitcmp1_b32 s19, 0
	s_cselect_b64 s[0:1], -1, 0
	s_and_b64 vcc, exec, s[0:1]
	s_barrier
	s_cbranch_vccz .LBB40_20
; %bb.3:
	s_ashr_i32 s7, s6, 31
	s_lshl_b64 s[0:1], s[6:7], 3
	s_add_u32 s0, s20, s0
	s_addc_u32 s1, s21, s1
	s_load_dwordx4 s[24:27], s[0:1], 0x0
	v_subrev_co_u32_e32 v2, vcc, s16, v1
	s_mov_b32 s0, 0
	v_mov_b32_e32 v9, 0
	s_waitcnt lgkmcnt(0)
	s_sub_u32 s20, s26, s16
	s_subb_u32 s21, s27, 0
	v_subb_co_u32_e64 v3, s[26:27], 0, 0, vcc
	v_mov_b32_e32 v4, s25
	v_add_co_u32_e32 v2, vcc, s24, v2
	v_addc_co_u32_e32 v3, vcc, v3, v4, vcc
	v_cmp_gt_i64_e32 vcc, s[20:21], v[2:3]
	s_and_saveexec_b64 s[24:25], vcc
	s_cbranch_execz .LBB40_19
; %bb.4:
	v_subrev_co_u32_e32 v10, vcc, s17, v8
	v_subb_co_u32_e64 v11, s[26:27], 0, 0, vcc
	s_mov_b32 s7, s17
	s_mov_b64 s[26:27], 0
	v_mov_b32_e32 v9, 0
	v_mov_b32_e32 v12, s23
	;; [unrolled: 1-line block ×4, first 2 shown]
	s_movk_i32 s9, 0x4f
	v_mov_b32_e32 v15, -1
	s_branch .LBB40_7
.LBB40_5:                               ;   in Loop: Header=BB40_7 Depth=1
	s_or_b64 exec, exec, s[30:31]
.LBB40_6:                               ;   in Loop: Header=BB40_7 Depth=1
	s_or_b64 exec, exec, s[28:29]
	v_add_co_u32_e32 v2, vcc, 32, v2
	v_addc_co_u32_e32 v3, vcc, 0, v3, vcc
	v_cmp_le_i64_e32 vcc, s[20:21], v[2:3]
	s_or_b64 s[26:27], vcc, s[26:27]
	s_andn2_b64 exec, exec, s[26:27]
	s_cbranch_execz .LBB40_18
.LBB40_7:                               ; =>This Loop Header: Depth=1
                                        ;     Child Loop BB40_10 Depth 2
                                        ;       Child Loop BB40_13 Depth 3
	v_lshlrev_b64 v[4:5], 2, v[2:3]
	v_add_co_u32_e32 v4, vcc, s22, v4
	v_addc_co_u32_e32 v5, vcc, v12, v5, vcc
	global_load_dword v4, v[4:5], off
	s_waitcnt vmcnt(0)
	v_subrev_u32_e32 v4, s16, v4
	v_ashrrev_i32_e32 v5, 31, v4
	v_lshlrev_b64 v[4:5], 3, v[4:5]
	v_add_co_u32_e32 v4, vcc, s8, v4
	v_addc_co_u32_e32 v5, vcc, v13, v5, vcc
	global_load_dwordx4 v[16:19], v[4:5], off
	s_waitcnt vmcnt(0)
	v_subrev_co_u32_e32 v4, vcc, s7, v18
	v_subb_co_u32_e32 v5, vcc, v19, v14, vcc
	v_add_co_u32_e32 v6, vcc, v10, v16
	v_addc_co_u32_e32 v7, vcc, v11, v17, vcc
	v_cmp_lt_i64_e32 vcc, v[6:7], v[4:5]
	s_and_saveexec_b64 s[28:29], vcc
	s_cbranch_execz .LBB40_6
; %bb.8:                                ;   in Loop: Header=BB40_7 Depth=1
	s_mov_b64 s[30:31], 0
	s_branch .LBB40_10
.LBB40_9:                               ;   in Loop: Header=BB40_10 Depth=2
	s_or_b64 exec, exec, s[40:41]
	v_add_co_u32_e32 v6, vcc, 32, v6
	v_addc_co_u32_e32 v7, vcc, 0, v7, vcc
	v_cndmask_b32_e64 v16, 0, 1, s[34:35]
	v_cmp_ge_i64_e32 vcc, v[6:7], v[4:5]
	s_or_b64 s[30:31], vcc, s[30:31]
	v_add_u32_e32 v9, v9, v16
	s_andn2_b64 exec, exec, s[30:31]
	s_cbranch_execz .LBB40_5
.LBB40_10:                              ;   Parent Loop BB40_7 Depth=1
                                        ; =>  This Loop Header: Depth=2
                                        ;       Child Loop BB40_13 Depth 3
	v_lshlrev_b64 v[16:17], 2, v[6:7]
	v_mov_b32_e32 v18, s11
	v_add_co_u32_e32 v16, vcc, s10, v16
	v_addc_co_u32_e32 v17, vcc, v18, v17, vcc
	global_load_dword v16, v[16:17], off
	s_mov_b64 s[40:41], 0
                                        ; implicit-def: $sgpr34_sgpr35
                                        ; implicit-def: $sgpr36_sgpr37
                                        ; implicit-def: $sgpr38_sgpr39
                                        ; implicit-def: $sgpr42_sgpr43
	s_waitcnt vmcnt(0)
	v_subrev_u32_e32 v16, s17, v16
	v_mul_lo_u32 v17, v16, s9
	v_and_b32_e32 v17, 0xffff, v17
	s_branch .LBB40_13
.LBB40_11:                              ;   in Loop: Header=BB40_13 Depth=3
	s_or_b64 exec, exec, s[48:49]
	s_andn2_b64 s[38:39], s[38:39], exec
	s_and_b64 s[42:43], s[46:47], exec
	s_andn2_b64 s[36:37], s[36:37], exec
	s_and_b64 s[0:1], s[0:1], exec
	s_or_b64 s[38:39], s[38:39], s[42:43]
	s_or_b64 s[36:37], s[36:37], s[0:1]
                                        ; implicit-def: $sgpr42_sgpr43
.LBB40_12:                              ;   in Loop: Header=BB40_13 Depth=3
	s_or_b64 exec, exec, s[44:45]
	s_xor_b64 s[0:1], s[36:37], -1
	s_and_b64 s[0:1], exec, s[0:1]
	s_or_b64 s[40:41], s[0:1], s[40:41]
	s_andn2_b64 s[0:1], s[42:43], exec
	s_and_b64 s[44:45], s[38:39], exec
	s_or_b64 s[42:43], s[0:1], s[44:45]
	s_andn2_b64 s[0:1], s[34:35], exec
	s_or_b64 s[34:35], s[0:1], s[44:45]
	s_andn2_b64 exec, exec, s[40:41]
	s_cbranch_execz .LBB40_9
.LBB40_13:                              ;   Parent Loop BB40_7 Depth=1
                                        ;     Parent Loop BB40_10 Depth=2
                                        ; =>    This Inner Loop Header: Depth=3
	v_lshl_add_u32 v18, v17, 2, 0
	ds_read_b32 v19, v18
	s_andn2_b64 s[38:39], s[38:39], exec
	s_andn2_b64 s[36:37], s[36:37], exec
	s_waitcnt lgkmcnt(0)
	v_cmp_ne_u32_e32 vcc, v19, v16
	s_and_saveexec_b64 s[44:45], vcc
	s_cbranch_execz .LBB40_12
; %bb.14:                               ;   in Loop: Header=BB40_13 Depth=3
	v_cmp_ne_u32_e32 vcc, -1, v19
                                        ; implicit-def: $sgpr46_sgpr47
                                        ; implicit-def: $sgpr0_sgpr1
	s_and_saveexec_b64 s[48:49], vcc
	s_xor_b64 s[48:49], exec, s[48:49]
; %bb.15:                               ;   in Loop: Header=BB40_13 Depth=3
	v_add_u32_e32 v17, 1, v17
	v_and_b32_e32 v17, 0xffff, v17
	s_mov_b64 s[0:1], -1
	s_and_b64 s[46:47], s[42:43], exec
                                        ; implicit-def: $vgpr18
; %bb.16:                               ;   in Loop: Header=BB40_13 Depth=3
	s_andn2_saveexec_b64 s[48:49], s[48:49]
	s_cbranch_execz .LBB40_11
; %bb.17:                               ;   in Loop: Header=BB40_13 Depth=3
	ds_cmpst_rtn_b32 v18, v18, v15, v16
	s_andn2_b64 s[50:51], s[0:1], exec
	s_andn2_b64 s[46:47], s[46:47], exec
	s_waitcnt lgkmcnt(0)
	v_cmp_eq_u32_e64 s[0:1], -1, v18
	v_cmp_ne_u32_e32 vcc, -1, v18
	s_or_b64 s[42:43], s[0:1], s[42:43]
	s_and_b64 s[0:1], vcc, exec
	s_and_b64 s[42:43], s[42:43], exec
	s_or_b64 s[0:1], s[50:51], s[0:1]
	s_or_b64 s[46:47], s[46:47], s[42:43]
	s_branch .LBB40_11
.LBB40_18:
	s_or_b64 exec, exec, s[26:27]
.LBB40_19:
	s_or_b64 exec, exec, s[24:25]
.LBB40_20:
	s_load_dword s0, s[4:5], 0x54
	s_waitcnt lgkmcnt(0)
	s_bfe_u32 s0, s0, 0x10008
	s_cmp_eq_u32 s0, 0
	s_cbranch_scc1 .LBB40_34
; %bb.21:
	s_ashr_i32 s7, s6, 31
	s_lshl_b64 s[0:1], s[6:7], 3
	s_add_u32 s0, s12, s0
	s_addc_u32 s1, s13, s1
	s_load_dwordx4 s[8:11], s[0:1], 0x0
	v_subrev_co_u32_e32 v2, vcc, s18, v1
	v_subb_co_u32_e64 v3, s[0:1], 0, 0, vcc
	s_waitcnt lgkmcnt(0)
	s_sub_u32 s4, s10, s18
	v_mov_b32_e32 v4, s9
	v_add_co_u32_e32 v2, vcc, s8, v2
	s_subb_u32 s5, s11, 0
	v_addc_co_u32_e32 v3, vcc, v3, v4, vcc
	v_cmp_gt_i64_e32 vcc, s[4:5], v[2:3]
	s_and_saveexec_b64 s[8:9], vcc
	s_cbranch_execz .LBB40_33
; %bb.22:
	s_mov_b64 s[10:11], 0
	v_mov_b32_e32 v4, s15
	s_movk_i32 s7, 0x4f
	v_mov_b32_e32 v5, -1
	s_branch .LBB40_24
.LBB40_23:                              ;   in Loop: Header=BB40_24 Depth=1
	s_or_b64 exec, exec, s[22:23]
	v_add_co_u32_e32 v2, vcc, 32, v2
	v_addc_co_u32_e32 v3, vcc, 0, v3, vcc
	v_cndmask_b32_e64 v6, 0, 1, s[12:13]
	v_cmp_le_i64_e32 vcc, s[4:5], v[2:3]
	s_or_b64 s[10:11], vcc, s[10:11]
	v_add_u32_e32 v9, v9, v6
	s_andn2_b64 exec, exec, s[10:11]
	s_cbranch_execz .LBB40_32
.LBB40_24:                              ; =>This Loop Header: Depth=1
                                        ;     Child Loop BB40_27 Depth 2
	v_lshlrev_b64 v[6:7], 2, v[2:3]
	v_add_co_u32_e32 v6, vcc, s14, v6
	v_addc_co_u32_e32 v7, vcc, v4, v7, vcc
	global_load_dword v6, v[6:7], off
	s_mov_b64 s[22:23], 0
                                        ; implicit-def: $sgpr12_sgpr13
                                        ; implicit-def: $sgpr16_sgpr17
                                        ; implicit-def: $sgpr20_sgpr21
                                        ; implicit-def: $sgpr24_sgpr25
	s_waitcnt vmcnt(0)
	v_subrev_u32_e32 v6, s18, v6
	v_mul_lo_u32 v7, v6, s7
	v_and_b32_e32 v7, 0xffff, v7
	s_branch .LBB40_27
.LBB40_25:                              ;   in Loop: Header=BB40_27 Depth=2
	s_or_b64 exec, exec, s[30:31]
	s_andn2_b64 s[20:21], s[20:21], exec
	s_and_b64 s[24:25], s[28:29], exec
	s_andn2_b64 s[16:17], s[16:17], exec
	s_and_b64 s[0:1], s[0:1], exec
	s_or_b64 s[20:21], s[20:21], s[24:25]
	s_or_b64 s[16:17], s[16:17], s[0:1]
                                        ; implicit-def: $sgpr24_sgpr25
.LBB40_26:                              ;   in Loop: Header=BB40_27 Depth=2
	s_or_b64 exec, exec, s[26:27]
	s_xor_b64 s[0:1], s[16:17], -1
	s_and_b64 s[0:1], exec, s[0:1]
	s_or_b64 s[22:23], s[0:1], s[22:23]
	s_andn2_b64 s[0:1], s[24:25], exec
	s_and_b64 s[26:27], s[20:21], exec
	s_or_b64 s[24:25], s[0:1], s[26:27]
	s_andn2_b64 s[0:1], s[12:13], exec
	s_or_b64 s[12:13], s[0:1], s[26:27]
	s_andn2_b64 exec, exec, s[22:23]
	s_cbranch_execz .LBB40_23
.LBB40_27:                              ;   Parent Loop BB40_24 Depth=1
                                        ; =>  This Inner Loop Header: Depth=2
	v_lshl_add_u32 v10, v7, 2, 0
	ds_read_b32 v11, v10
	s_andn2_b64 s[20:21], s[20:21], exec
	s_andn2_b64 s[16:17], s[16:17], exec
	s_waitcnt lgkmcnt(0)
	v_cmp_ne_u32_e32 vcc, v11, v6
	s_and_saveexec_b64 s[26:27], vcc
	s_cbranch_execz .LBB40_26
; %bb.28:                               ;   in Loop: Header=BB40_27 Depth=2
	v_cmp_ne_u32_e32 vcc, -1, v11
                                        ; implicit-def: $sgpr28_sgpr29
                                        ; implicit-def: $sgpr0_sgpr1
	s_and_saveexec_b64 s[30:31], vcc
	s_xor_b64 s[30:31], exec, s[30:31]
; %bb.29:                               ;   in Loop: Header=BB40_27 Depth=2
	v_add_u32_e32 v7, 1, v7
	v_and_b32_e32 v7, 0xffff, v7
	s_mov_b64 s[0:1], -1
	s_and_b64 s[28:29], s[24:25], exec
                                        ; implicit-def: $vgpr10
; %bb.30:                               ;   in Loop: Header=BB40_27 Depth=2
	s_andn2_saveexec_b64 s[30:31], s[30:31]
	s_cbranch_execz .LBB40_25
; %bb.31:                               ;   in Loop: Header=BB40_27 Depth=2
	ds_cmpst_rtn_b32 v10, v10, v5, v6
	s_andn2_b64 s[34:35], s[0:1], exec
	s_andn2_b64 s[28:29], s[28:29], exec
	s_waitcnt lgkmcnt(0)
	v_cmp_eq_u32_e64 s[0:1], -1, v10
	v_cmp_ne_u32_e32 vcc, -1, v10
	s_or_b64 s[24:25], s[0:1], s[24:25]
	s_and_b64 s[0:1], vcc, exec
	s_and_b64 s[24:25], s[24:25], exec
	s_or_b64 s[0:1], s[34:35], s[0:1]
	s_or_b64 s[28:29], s[28:29], s[24:25]
	s_branch .LBB40_25
.LBB40_32:
	s_or_b64 exec, exec, s[10:11]
.LBB40_33:
	s_or_b64 exec, exec, s[8:9]
.LBB40_34:
	v_mov_b32_dpp v2, v9 row_shr:1 row_mask:0xf bank_mask:0xf
	v_add_u32_e32 v2, v2, v9
	v_cmp_eq_u32_e32 vcc, 31, v8
	s_nop 0
	v_mov_b32_dpp v3, v2 row_shr:2 row_mask:0xf bank_mask:0xf
	v_add_u32_e32 v2, v2, v3
	s_barrier
	s_nop 0
	v_mov_b32_dpp v3, v2 row_shr:4 row_mask:0xf bank_mask:0xe
	v_add_u32_e32 v2, v2, v3
	s_nop 1
	v_mov_b32_dpp v3, v2 row_shr:8 row_mask:0xf bank_mask:0xc
	v_add_u32_e32 v2, v2, v3
	s_nop 1
	v_mov_b32_dpp v3, v2 row_bcast:15 row_mask:0xa bank_mask:0xf
	s_and_saveexec_b64 s[0:1], vcc
	s_cbranch_execz .LBB40_36
; %bb.35:
	v_lshl_add_u32 v1, v1, 2, 0
	v_add_u32_e32 v2, v2, v3
	ds_write_b32 v1, v2
.LBB40_36:
	s_or_b64 exec, exec, s[0:1]
	v_cmp_gt_u32_e32 vcc, 32, v0
	v_mov_b32_e32 v1, 0
	s_waitcnt lgkmcnt(0)
	s_barrier
	s_and_saveexec_b64 s[0:1], vcc
	s_cbranch_execz .LBB40_38
; %bb.37:
	v_lshl_add_u32 v1, v0, 2, 0
	ds_read_b32 v1, v1
.LBB40_38:
	s_or_b64 exec, exec, s[0:1]
	s_waitcnt lgkmcnt(0)
	v_mov_b32_dpp v2, v1 row_shr:1 row_mask:0xf bank_mask:0xf
	v_add_u32_e32 v1, v2, v1
	v_cmp_eq_u32_e32 vcc, 31, v0
	s_nop 0
	v_mov_b32_dpp v2, v1 row_shr:2 row_mask:0xf bank_mask:0xf
	v_add_u32_e32 v1, v1, v2
	s_nop 1
	v_mov_b32_dpp v2, v1 row_shr:4 row_mask:0xf bank_mask:0xe
	v_add_u32_e32 v1, v1, v2
	;; [unrolled: 3-line block ×3, first 2 shown]
	s_nop 1
	v_mov_b32_dpp v2, v1 row_bcast:15 row_mask:0xa bank_mask:0xf
	s_and_saveexec_b64 s[0:1], vcc
	s_cbranch_execz .LBB40_40
; %bb.39:
	s_ashr_i32 s7, s6, 31
	s_lshl_b64 s[0:1], s[6:7], 3
	s_add_u32 s0, s2, s0
	v_add_u32_e32 v0, v1, v2
	s_addc_u32 s1, s3, s1
	v_mov_b32_e32 v3, 0
	v_ashrrev_i32_e32 v1, 31, v0
	global_store_dwordx2 v3, v[0:1], s[0:1]
.LBB40_40:
	s_endpgm
	.section	.rodata,"a",@progbits
	.p2align	6, 0x0
	.amdhsa_kernel _ZN9rocsparseL25csrgemm_nnz_block_per_rowILj1024ELj32ELj65536ELj79EliEEvPKT4_S3_PKT3_S3_S6_S3_S6_S3_PS4_21rocsparse_index_base_S8_S8_bb
		.amdhsa_group_segment_fixed_size 0
		.amdhsa_private_segment_fixed_size 0
		.amdhsa_kernarg_size 88
		.amdhsa_user_sgpr_count 6
		.amdhsa_user_sgpr_private_segment_buffer 1
		.amdhsa_user_sgpr_dispatch_ptr 0
		.amdhsa_user_sgpr_queue_ptr 0
		.amdhsa_user_sgpr_kernarg_segment_ptr 1
		.amdhsa_user_sgpr_dispatch_id 0
		.amdhsa_user_sgpr_flat_scratch_init 0
		.amdhsa_user_sgpr_kernarg_preload_length 0
		.amdhsa_user_sgpr_kernarg_preload_offset 0
		.amdhsa_user_sgpr_private_segment_size 0
		.amdhsa_uses_dynamic_stack 0
		.amdhsa_system_sgpr_private_segment_wavefront_offset 0
		.amdhsa_system_sgpr_workgroup_id_x 1
		.amdhsa_system_sgpr_workgroup_id_y 0
		.amdhsa_system_sgpr_workgroup_id_z 0
		.amdhsa_system_sgpr_workgroup_info 0
		.amdhsa_system_vgpr_workitem_id 0
		.amdhsa_next_free_vgpr 20
		.amdhsa_next_free_sgpr 52
		.amdhsa_accum_offset 20
		.amdhsa_reserve_vcc 1
		.amdhsa_reserve_flat_scratch 0
		.amdhsa_float_round_mode_32 0
		.amdhsa_float_round_mode_16_64 0
		.amdhsa_float_denorm_mode_32 3
		.amdhsa_float_denorm_mode_16_64 3
		.amdhsa_dx10_clamp 1
		.amdhsa_ieee_mode 1
		.amdhsa_fp16_overflow 0
		.amdhsa_tg_split 0
		.amdhsa_exception_fp_ieee_invalid_op 0
		.amdhsa_exception_fp_denorm_src 0
		.amdhsa_exception_fp_ieee_div_zero 0
		.amdhsa_exception_fp_ieee_overflow 0
		.amdhsa_exception_fp_ieee_underflow 0
		.amdhsa_exception_fp_ieee_inexact 0
		.amdhsa_exception_int_div_zero 0
	.end_amdhsa_kernel
	.section	.text._ZN9rocsparseL25csrgemm_nnz_block_per_rowILj1024ELj32ELj65536ELj79EliEEvPKT4_S3_PKT3_S3_S6_S3_S6_S3_PS4_21rocsparse_index_base_S8_S8_bb,"axG",@progbits,_ZN9rocsparseL25csrgemm_nnz_block_per_rowILj1024ELj32ELj65536ELj79EliEEvPKT4_S3_PKT3_S3_S6_S3_S6_S3_PS4_21rocsparse_index_base_S8_S8_bb,comdat
.Lfunc_end40:
	.size	_ZN9rocsparseL25csrgemm_nnz_block_per_rowILj1024ELj32ELj65536ELj79EliEEvPKT4_S3_PKT3_S3_S6_S3_S6_S3_PS4_21rocsparse_index_base_S8_S8_bb, .Lfunc_end40-_ZN9rocsparseL25csrgemm_nnz_block_per_rowILj1024ELj32ELj65536ELj79EliEEvPKT4_S3_PKT3_S3_S6_S3_S6_S3_PS4_21rocsparse_index_base_S8_S8_bb
                                        ; -- End function
	.section	.AMDGPU.csdata,"",@progbits
; Kernel info:
; codeLenInByte = 1480
; NumSgprs: 56
; NumVgprs: 20
; NumAgprs: 0
; TotalNumVgprs: 20
; ScratchSize: 0
; MemoryBound: 0
; FloatMode: 240
; IeeeMode: 1
; LDSByteSize: 0 bytes/workgroup (compile time only)
; SGPRBlocks: 6
; VGPRBlocks: 2
; NumSGPRsForWavesPerEU: 56
; NumVGPRsForWavesPerEU: 20
; AccumOffset: 20
; Occupancy: 8
; WaveLimiterHint : 1
; COMPUTE_PGM_RSRC2:SCRATCH_EN: 0
; COMPUTE_PGM_RSRC2:USER_SGPR: 6
; COMPUTE_PGM_RSRC2:TRAP_HANDLER: 0
; COMPUTE_PGM_RSRC2:TGID_X_EN: 1
; COMPUTE_PGM_RSRC2:TGID_Y_EN: 0
; COMPUTE_PGM_RSRC2:TGID_Z_EN: 0
; COMPUTE_PGM_RSRC2:TIDIG_COMP_CNT: 0
; COMPUTE_PGM_RSRC3_GFX90A:ACCUM_OFFSET: 4
; COMPUTE_PGM_RSRC3_GFX90A:TG_SPLIT: 0
	.section	.text._ZN9rocsparseL35csrgemm_nnz_block_per_row_multipassILj512ELj16ELj2048EliEEvT3_PKS1_S3_PKT2_S3_S6_S3_S6_S3_PS4_S7_21rocsparse_index_base_S8_S8_bb,"axG",@progbits,_ZN9rocsparseL35csrgemm_nnz_block_per_row_multipassILj512ELj16ELj2048EliEEvT3_PKS1_S3_PKT2_S3_S6_S3_S6_S3_PS4_S7_21rocsparse_index_base_S8_S8_bb,comdat
	.globl	_ZN9rocsparseL35csrgemm_nnz_block_per_row_multipassILj512ELj16ELj2048EliEEvT3_PKS1_S3_PKT2_S3_S6_S3_S6_S3_PS4_S7_21rocsparse_index_base_S8_S8_bb ; -- Begin function _ZN9rocsparseL35csrgemm_nnz_block_per_row_multipassILj512ELj16ELj2048EliEEvT3_PKS1_S3_PKT2_S3_S6_S3_S6_S3_PS4_S7_21rocsparse_index_base_S8_S8_bb
	.p2align	8
	.type	_ZN9rocsparseL35csrgemm_nnz_block_per_row_multipassILj512ELj16ELj2048EliEEvT3_PKS1_S3_PKT2_S3_S6_S3_S6_S3_PS4_S7_21rocsparse_index_base_S8_S8_bb,@function
_ZN9rocsparseL35csrgemm_nnz_block_per_row_multipassILj512ELj16ELj2048EliEEvT3_PKS1_S3_PKT2_S3_S6_S3_S6_S3_PS4_S7_21rocsparse_index_base_S8_S8_bb: ; @_ZN9rocsparseL35csrgemm_nnz_block_per_row_multipassILj512ELj16ELj2048EliEEvT3_PKS1_S3_PKT2_S3_S6_S3_S6_S3_PS4_S7_21rocsparse_index_base_S8_S8_bb
; %bb.0:
	s_load_dwordx4 s[0:3], s[4:5], 0x8
	s_load_dwordx2 s[12:13], s[4:5], 0x18
	s_waitcnt lgkmcnt(0)
	s_load_dword s0, s[0:1], 0x0
	s_mov_b32 s1, 0
	s_waitcnt lgkmcnt(0)
	s_add_i32 s0, s0, s6
	s_lshl_b64 s[0:1], s[0:1], 2
	s_add_u32 s2, s2, s0
	s_addc_u32 s3, s3, s1
	v_cmp_eq_u32_e64 s[0:1], 0, v0
	s_and_saveexec_b64 s[6:7], s[0:1]
	s_cbranch_execz .LBB41_2
; %bb.1:
	v_mov_b32_e32 v1, 0
	ds_write_b32 v1, v1 offset:2052
.LBB41_2:
	s_or_b64 exec, exec, s[6:7]
	s_load_dwordx4 s[20:23], s[4:5], 0x58
	s_load_dword s10, s[2:3], 0x0
	s_mov_b64 s[24:25], 0
	s_mov_b64 s[2:3], 0
	s_waitcnt lgkmcnt(0)
	s_bitcmp1_b32 s23, 0
	s_cselect_b64 s[8:9], -1, 0
	s_bitcmp0_b32 s23, 0
	s_cbranch_scc0 .LBB41_5
; %bb.3:
	s_andn2_b64 vcc, exec, s[8:9]
	s_cbranch_vccz .LBB41_6
.LBB41_4:
	s_load_dword s23, s[4:5], 0x0
	s_waitcnt lgkmcnt(0)
	s_cmp_lt_i32 s23, 1
	s_cbranch_scc0 .LBB41_7
	s_branch .LBB41_67
.LBB41_5:
	s_ashr_i32 s11, s10, 31
	s_lshl_b64 s[2:3], s[10:11], 3
	s_add_u32 s2, s12, s2
	s_addc_u32 s3, s13, s3
	s_load_dwordx2 s[2:3], s[2:3], 0x0
	s_waitcnt lgkmcnt(0)
	s_sub_u32 s2, s2, s20
	s_subb_u32 s3, s3, 0
	s_andn2_b64 vcc, exec, s[8:9]
	s_cbranch_vccnz .LBB41_4
.LBB41_6:
	s_ashr_i32 s11, s10, 31
	s_lshl_b64 s[6:7], s[10:11], 3
	s_add_u32 s6, s12, s6
	s_addc_u32 s7, s13, s7
	s_load_dwordx2 s[6:7], s[6:7], 0x8
	s_waitcnt lgkmcnt(0)
	s_sub_u32 s24, s6, s20
	s_subb_u32 s25, s7, 0
	s_load_dword s23, s[4:5], 0x0
	s_waitcnt lgkmcnt(0)
	s_cmp_lt_i32 s23, 1
	s_cbranch_scc1 .LBB41_67
.LBB41_7:
	s_load_dword s6, s[4:5], 0x64
	s_load_dwordx8 s[12:19], s[4:5], 0x20
	s_load_dwordx2 s[26:27], s[4:5], 0x50
	s_load_dwordx2 s[28:29], s[4:5], 0x40
	v_lshrrev_b32_e32 v3, 4, v0
	s_waitcnt lgkmcnt(0)
	s_bitcmp1_b32 s6, 8
	s_cselect_b64 s[30:31], -1, 0
	v_mov_b32_e32 v5, s3
	v_add_co_u32_e32 v4, vcc, s2, v3
	s_ashr_i32 s11, s10, 31
	v_addc_co_u32_e32 v5, vcc, 0, v5, vcc
	s_lshl_b64 s[6:7], s[10:11], 3
	v_cmp_gt_i64_e32 vcc, s[24:25], v[4:5]
	s_add_u32 s18, s18, s6
	s_addc_u32 s19, s19, s7
	s_and_b64 s[34:35], s[8:9], vcc
	v_and_b32_e32 v2, 15, v0
	v_subrev_co_u32_e64 v3, s[6:7], s22, v0
	s_add_u32 s11, s14, 8
	s_mov_b32 s33, 0
	v_mov_b32_e32 v1, 0
	s_mov_b32 s54, s21
	v_cmp_eq_u32_e64 s[2:3], 15, v2
	v_subb_co_u32_e64 v22, s[6:7], 0, 0, s[6:7]
	s_addc_u32 s55, s15, 0
	v_or_b32_e32 v23, 0xfffffe00, v0
	v_mov_b32_e32 v25, 0x800
	s_mov_b64 s[36:37], -1
	s_movk_i32 s56, 0x5ff
	v_mov_b32_e32 v24, 1
	v_mov_b32_e32 v26, 0
	s_branch .LBB41_9
.LBB41_8:                               ;   in Loop: Header=BB41_9 Depth=1
	s_or_b64 exec, exec, s[6:7]
	s_waitcnt lgkmcnt(0)
	s_barrier
	ds_read_b32 v26, v1 offset:2048
	s_waitcnt lgkmcnt(0)
	s_barrier
	v_cmp_gt_i32_e32 vcc, s23, v26
	v_add_u32_e32 v25, 0x800, v26
	s_cbranch_vccz .LBB41_67
.LBB41_9:                               ; =>This Loop Header: Depth=1
                                        ;     Child Loop BB41_18 Depth 2
                                        ;       Child Loop BB41_24 Depth 3
                                        ;     Child Loop BB41_45 Depth 2
                                        ;     Child Loop BB41_57 Depth 2
	;; [unrolled: 1-line block ×4, first 2 shown]
	s_and_saveexec_b64 s[6:7], s[36:37]
	s_cbranch_execnz .LBB41_36
; %bb.10:                               ;   in Loop: Header=BB41_9 Depth=1
	s_or_b64 exec, exec, s[6:7]
	s_and_saveexec_b64 s[6:7], s[36:37]
	s_cbranch_execnz .LBB41_37
.LBB41_11:                              ;   in Loop: Header=BB41_9 Depth=1
	s_or_b64 exec, exec, s[6:7]
	s_and_saveexec_b64 s[6:7], s[36:37]
	s_cbranch_execnz .LBB41_38
.LBB41_12:                              ;   in Loop: Header=BB41_9 Depth=1
	s_or_b64 exec, exec, s[6:7]
	s_and_saveexec_b64 s[6:7], s[36:37]
	s_cbranch_execnz .LBB41_39
.LBB41_13:                              ;   in Loop: Header=BB41_9 Depth=1
	s_or_b64 exec, exec, s[6:7]
	s_and_saveexec_b64 s[6:7], s[0:1]
	s_cbranch_execz .LBB41_15
.LBB41_14:                              ;   in Loop: Header=BB41_9 Depth=1
	v_mov_b32_e32 v6, s23
	ds_write_b32 v1, v6 offset:2048
.LBB41_15:                              ;   in Loop: Header=BB41_9 Depth=1
	s_or_b64 exec, exec, s[6:7]
	v_mov_b32_e32 v27, s23
	s_waitcnt lgkmcnt(0)
	s_barrier
	s_and_saveexec_b64 s[38:39], s[34:35]
	s_cbranch_execz .LBB41_41
; %bb.16:                               ;   in Loop: Header=BB41_9 Depth=1
	s_mov_b64 s[40:41], 0
	v_cmp_ne_u32_e64 s[6:7], 0, v26
	v_mov_b32_e32 v27, s23
	v_pk_mov_b32 v[6:7], v[4:5], v[4:5] op_sel:[0,1]
	s_branch .LBB41_18
.LBB41_17:                              ;   in Loop: Header=BB41_18 Depth=2
	s_or_b64 exec, exec, s[8:9]
	v_add_co_u32_e32 v6, vcc, 32, v6
	v_addc_co_u32_e32 v7, vcc, 0, v7, vcc
	v_cmp_le_i64_e32 vcc, s[24:25], v[6:7]
	s_or_b64 s[40:41], vcc, s[40:41]
	s_andn2_b64 exec, exec, s[40:41]
	s_cbranch_execz .LBB41_40
.LBB41_18:                              ;   Parent Loop BB41_9 Depth=1
                                        ; =>  This Loop Header: Depth=2
                                        ;       Child Loop BB41_24 Depth 3
	v_lshlrev_b64 v[8:9], 2, v[6:7]
	v_mov_b32_e32 v10, s13
	v_add_co_u32_e32 v8, vcc, s12, v8
	v_addc_co_u32_e32 v9, vcc, v10, v9, vcc
	global_load_dword v10, v[8:9], off
	s_and_b64 vcc, exec, s[6:7]
	v_lshlrev_b64 v[8:9], 3, v[6:7]
	s_waitcnt vmcnt(0)
	v_subrev_u32_e32 v10, s20, v10
	v_ashrrev_i32_e32 v11, 31, v10
	s_cbranch_vccz .LBB41_35
; %bb.19:                               ;   in Loop: Header=BB41_18 Depth=2
	v_mov_b32_e32 v13, s27
	v_add_co_u32_e32 v12, vcc, s26, v8
	v_addc_co_u32_e32 v13, vcc, v13, v9, vcc
	global_load_dwordx2 v[14:15], v[12:13], off
	s_cbranch_execnz .LBB41_21
.LBB41_20:                              ;   in Loop: Header=BB41_18 Depth=2
	v_lshlrev_b64 v[12:13], 3, v[10:11]
	s_waitcnt vmcnt(0)
	v_mov_b32_e32 v14, s15
	v_add_co_u32_e32 v12, vcc, s14, v12
	v_addc_co_u32_e32 v13, vcc, v14, v13, vcc
	global_load_dwordx2 v[12:13], v[12:13], off
	v_mov_b32_e32 v15, s33
	s_waitcnt vmcnt(0)
	v_subrev_co_u32_e32 v14, vcc, s54, v12
	v_subb_co_u32_e32 v15, vcc, v13, v15, vcc
.LBB41_21:                              ;   in Loop: Header=BB41_18 Depth=2
	v_lshlrev_b64 v[10:11], 3, v[10:11]
	v_mov_b32_e32 v12, s55
	v_add_co_u32_e32 v10, vcc, s11, v10
	v_addc_co_u32_e32 v11, vcc, v12, v11, vcc
	global_load_dwordx2 v[10:11], v[10:11], off
	v_mov_b32_e32 v13, s33
	s_waitcnt vmcnt(0)
	v_subrev_co_u32_e32 v12, vcc, s54, v10
	v_subb_co_u32_e32 v13, vcc, v11, v13, vcc
	v_add_co_u32_e32 v10, vcc, v14, v2
	v_addc_co_u32_e32 v11, vcc, 0, v15, vcc
	v_cmp_lt_i64_e32 vcc, v[10:11], v[12:13]
	s_and_saveexec_b64 s[42:43], vcc
	s_cbranch_execz .LBB41_33
; %bb.22:                               ;   in Loop: Header=BB41_18 Depth=2
	v_lshlrev_b64 v[14:15], 2, v[10:11]
	v_mov_b32_e32 v16, s17
	v_add_co_u32_e32 v14, vcc, s16, v14
	v_addc_co_u32_e32 v15, vcc, v16, v15, vcc
	s_mov_b64 s[46:47], 0
	v_pk_mov_b32 v[16:17], v[10:11], v[10:11] op_sel:[0,1]
                                        ; implicit-def: $sgpr44_sgpr45
                                        ; implicit-def: $sgpr48_sgpr49
	s_branch .LBB41_24
.LBB41_23:                              ;   in Loop: Header=BB41_24 Depth=3
	s_or_b64 exec, exec, s[50:51]
	s_and_b64 s[8:9], exec, s[52:53]
	s_or_b64 s[46:47], s[8:9], s[46:47]
	s_andn2_b64 s[8:9], s[44:45], exec
	s_and_b64 s[44:45], s[48:49], exec
	s_or_b64 s[44:45], s[8:9], s[44:45]
	v_pk_mov_b32 v[16:17], v[18:19], v[18:19] op_sel:[0,1]
	s_andn2_b64 exec, exec, s[46:47]
	s_cbranch_execz .LBB41_30
.LBB41_24:                              ;   Parent Loop BB41_9 Depth=1
                                        ;     Parent Loop BB41_18 Depth=2
                                        ; =>    This Inner Loop Header: Depth=3
	global_load_dword v18, v[14:15], off
                                        ; implicit-def: $sgpr50_sgpr51
	s_waitcnt vmcnt(0)
	v_subrev_u32_e32 v28, s21, v18
	v_cmp_lt_i32_e32 vcc, v28, v26
	v_cmp_ge_i32_e64 s[8:9], v28, v25
	s_or_b64 s[52:53], vcc, s[8:9]
	s_mov_b64 s[8:9], 0
	s_and_saveexec_b64 s[58:59], s[52:53]
	s_xor_b64 s[52:53], exec, s[58:59]
; %bb.25:                               ;   in Loop: Header=BB41_24 Depth=3
	v_cmp_lt_i32_e32 vcc, v28, v25
	s_mov_b64 s[50:51], -1
	s_and_b64 s[8:9], vcc, exec
; %bb.26:                               ;   in Loop: Header=BB41_24 Depth=3
	s_andn2_saveexec_b64 s[52:53], s[52:53]
	s_cbranch_execz .LBB41_28
; %bb.27:                               ;   in Loop: Header=BB41_24 Depth=3
	v_sub_u32_e32 v18, v28, v26
	s_or_b64 s[8:9], s[8:9], exec
	ds_write_b8 v18, v24
.LBB41_28:                              ;   in Loop: Header=BB41_24 Depth=3
	s_or_b64 exec, exec, s[52:53]
	s_andn2_b64 s[48:49], s[48:49], exec
	s_and_b64 s[50:51], s[50:51], exec
	s_mov_b64 s[52:53], -1
	s_or_b64 s[48:49], s[48:49], s[50:51]
	v_pk_mov_b32 v[20:21], v[16:17], v[16:17] op_sel:[0,1]
                                        ; implicit-def: $vgpr18_vgpr19
	s_and_saveexec_b64 s[50:51], s[8:9]
	s_cbranch_execz .LBB41_23
; %bb.29:                               ;   in Loop: Header=BB41_24 Depth=3
	v_add_co_u32_e32 v18, vcc, 16, v16
	v_addc_co_u32_e32 v19, vcc, 0, v17, vcc
	v_add_co_u32_e32 v14, vcc, 64, v14
	v_addc_co_u32_e32 v15, vcc, 0, v15, vcc
	v_cmp_ge_i64_e32 vcc, v[18:19], v[12:13]
	s_andn2_b64 s[48:49], s[48:49], exec
	s_orn2_b64 s[52:53], vcc, exec
	v_pk_mov_b32 v[20:21], v[16:17], v[16:17] op_sel:[0,1]
	s_branch .LBB41_23
.LBB41_30:                              ;   in Loop: Header=BB41_18 Depth=2
	s_or_b64 exec, exec, s[46:47]
	s_and_saveexec_b64 s[8:9], s[44:45]
	s_xor_b64 s[8:9], exec, s[8:9]
; %bb.31:                               ;   in Loop: Header=BB41_18 Depth=2
	v_min_i32_e32 v27, v28, v27
	v_pk_mov_b32 v[10:11], v[20:21], v[20:21] op_sel:[0,1]
; %bb.32:                               ;   in Loop: Header=BB41_18 Depth=2
	s_or_b64 exec, exec, s[8:9]
.LBB41_33:                              ;   in Loop: Header=BB41_18 Depth=2
	s_or_b64 exec, exec, s[42:43]
	v_mov_b32_dpp v12, v10 row_shr:1 row_mask:0xf bank_mask:0xf
	v_mov_b32_dpp v13, v11 row_shr:1 row_mask:0xf bank_mask:0xf
	v_cmp_lt_i64_e32 vcc, v[12:13], v[10:11]
	v_cndmask_b32_e32 v11, v11, v13, vcc
	v_cndmask_b32_e32 v10, v10, v12, vcc
	s_nop 0
	v_mov_b32_dpp v13, v11 row_shr:2 row_mask:0xf bank_mask:0xf
	v_mov_b32_dpp v12, v10 row_shr:2 row_mask:0xf bank_mask:0xf
	v_cmp_lt_i64_e32 vcc, v[12:13], v[10:11]
	v_cndmask_b32_e32 v11, v11, v13, vcc
	v_cndmask_b32_e32 v10, v10, v12, vcc
	s_nop 0
	;; [unrolled: 6-line block ×3, first 2 shown]
	v_mov_b32_dpp v13, v11 row_shr:8 row_mask:0xf bank_mask:0xc
	v_mov_b32_dpp v12, v10 row_shr:8 row_mask:0xf bank_mask:0xc
	s_and_saveexec_b64 s[8:9], s[2:3]
	s_cbranch_execz .LBB41_17
; %bb.34:                               ;   in Loop: Header=BB41_18 Depth=2
	v_mov_b32_e32 v14, s27
	v_add_co_u32_e32 v8, vcc, s26, v8
	v_addc_co_u32_e32 v9, vcc, v14, v9, vcc
	v_cmp_lt_i64_e32 vcc, v[12:13], v[10:11]
	v_cndmask_b32_e32 v11, v11, v13, vcc
	v_cndmask_b32_e32 v10, v10, v12, vcc
	global_store_dwordx2 v[8:9], v[10:11], off
	s_branch .LBB41_17
.LBB41_35:                              ;   in Loop: Header=BB41_18 Depth=2
                                        ; implicit-def: $vgpr14_vgpr15
	s_branch .LBB41_20
.LBB41_36:                              ;   in Loop: Header=BB41_9 Depth=1
	ds_write_b8 v0, v1
	s_or_b64 exec, exec, s[6:7]
	s_and_saveexec_b64 s[6:7], s[36:37]
	s_cbranch_execz .LBB41_11
.LBB41_37:                              ;   in Loop: Header=BB41_9 Depth=1
	ds_write_b8 v0, v1 offset:512
	s_or_b64 exec, exec, s[6:7]
	s_and_saveexec_b64 s[6:7], s[36:37]
	s_cbranch_execz .LBB41_12
.LBB41_38:                              ;   in Loop: Header=BB41_9 Depth=1
	ds_write_b8 v0, v1 offset:1024
	s_or_b64 exec, exec, s[6:7]
	s_and_saveexec_b64 s[6:7], s[36:37]
	s_cbranch_execz .LBB41_13
.LBB41_39:                              ;   in Loop: Header=BB41_9 Depth=1
	ds_write_b8 v0, v1 offset:1536
	s_or_b64 exec, exec, s[6:7]
	s_and_saveexec_b64 s[6:7], s[0:1]
	s_cbranch_execnz .LBB41_14
	s_branch .LBB41_15
.LBB41_40:                              ;   in Loop: Header=BB41_9 Depth=1
	s_or_b64 exec, exec, s[40:41]
.LBB41_41:                              ;   in Loop: Header=BB41_9 Depth=1
	s_or_b64 exec, exec, s[38:39]
	s_andn2_b64 vcc, exec, s[30:31]
	s_cbranch_vccnz .LBB41_55
; %bb.42:                               ;   in Loop: Header=BB41_9 Depth=1
	s_load_dwordx4 s[40:43], s[18:19], 0x0
	s_waitcnt lgkmcnt(0)
	s_sub_u32 s38, s42, s22
	v_mov_b32_e32 v7, s41
	v_add_co_u32_e32 v6, vcc, s40, v3
	s_subb_u32 s39, s43, 0
	v_addc_co_u32_e32 v7, vcc, v22, v7, vcc
	v_cmp_gt_i64_e32 vcc, s[38:39], v[6:7]
	s_and_saveexec_b64 s[8:9], vcc
	s_cbranch_execz .LBB41_54
; %bb.43:                               ;   in Loop: Header=BB41_9 Depth=1
	v_lshlrev_b64 v[8:9], 2, v[6:7]
	v_mov_b32_e32 v10, s29
	v_add_co_u32_e32 v8, vcc, s28, v8
	v_addc_co_u32_e32 v9, vcc, v10, v9, vcc
	s_mov_b64 s[40:41], 0
                                        ; implicit-def: $sgpr42_sgpr43
                                        ; implicit-def: $sgpr44_sgpr45
	s_branch .LBB41_45
.LBB41_44:                              ;   in Loop: Header=BB41_45 Depth=2
	s_or_b64 exec, exec, s[46:47]
	s_and_b64 s[6:7], exec, s[48:49]
	s_or_b64 s[40:41], s[6:7], s[40:41]
	s_andn2_b64 s[6:7], s[42:43], exec
	s_and_b64 s[42:43], s[44:45], exec
	s_or_b64 s[42:43], s[6:7], s[42:43]
	s_andn2_b64 exec, exec, s[40:41]
	s_cbranch_execz .LBB41_51
.LBB41_45:                              ;   Parent Loop BB41_9 Depth=1
                                        ; =>  This Inner Loop Header: Depth=2
	global_load_dword v10, v[8:9], off
                                        ; implicit-def: $sgpr46_sgpr47
	s_waitcnt vmcnt(0)
	v_subrev_u32_e32 v10, s22, v10
	v_cmp_lt_i32_e32 vcc, v10, v26
	v_cmp_ge_i32_e64 s[6:7], v10, v25
	s_or_b64 s[48:49], vcc, s[6:7]
	s_mov_b64 s[6:7], 0
	s_and_saveexec_b64 s[50:51], s[48:49]
	s_xor_b64 s[48:49], exec, s[50:51]
; %bb.46:                               ;   in Loop: Header=BB41_45 Depth=2
	v_cmp_lt_i32_e32 vcc, v10, v25
	s_mov_b64 s[46:47], -1
	s_and_b64 s[6:7], vcc, exec
; %bb.47:                               ;   in Loop: Header=BB41_45 Depth=2
	s_andn2_saveexec_b64 s[48:49], s[48:49]
	s_cbranch_execz .LBB41_49
; %bb.48:                               ;   in Loop: Header=BB41_45 Depth=2
	v_sub_u32_e32 v11, v10, v26
	s_or_b64 s[6:7], s[6:7], exec
	ds_write_b8 v11, v24
.LBB41_49:                              ;   in Loop: Header=BB41_45 Depth=2
	s_or_b64 exec, exec, s[48:49]
	s_andn2_b64 s[44:45], s[44:45], exec
	s_and_b64 s[46:47], s[46:47], exec
	s_mov_b64 s[48:49], -1
	s_or_b64 s[44:45], s[44:45], s[46:47]
	s_and_saveexec_b64 s[46:47], s[6:7]
	s_cbranch_execz .LBB41_44
; %bb.50:                               ;   in Loop: Header=BB41_45 Depth=2
	v_add_co_u32_e32 v6, vcc, 0x200, v6
	v_addc_co_u32_e32 v7, vcc, 0, v7, vcc
	v_add_co_u32_e32 v8, vcc, 0x800, v8
	v_addc_co_u32_e32 v9, vcc, 0, v9, vcc
	v_cmp_le_i64_e32 vcc, s[38:39], v[6:7]
	s_andn2_b64 s[44:45], s[44:45], exec
	s_orn2_b64 s[48:49], vcc, exec
	s_branch .LBB41_44
.LBB41_51:                              ;   in Loop: Header=BB41_9 Depth=1
	s_or_b64 exec, exec, s[40:41]
	s_and_saveexec_b64 s[6:7], s[42:43]
	s_xor_b64 s[6:7], exec, s[6:7]
; %bb.52:                               ;   in Loop: Header=BB41_9 Depth=1
	v_min_i32_e32 v27, v10, v27
; %bb.53:                               ;   in Loop: Header=BB41_9 Depth=1
	s_or_b64 exec, exec, s[6:7]
.LBB41_54:                              ;   in Loop: Header=BB41_9 Depth=1
	s_or_b64 exec, exec, s[8:9]
.LBB41_55:                              ;   in Loop: Header=BB41_9 Depth=1
	v_mov_b32_dpp v6, v27 row_shr:1 row_mask:0xf bank_mask:0xf
	v_min_i32_e32 v6, v6, v27
	s_nop 1
	v_mov_b32_dpp v7, v6 row_shr:2 row_mask:0xf bank_mask:0xf
	v_min_i32_e32 v6, v7, v6
	s_nop 1
	;; [unrolled: 3-line block ×3, first 2 shown]
	v_mov_b32_dpp v7, v6 row_shr:8 row_mask:0xf bank_mask:0xc
	s_and_saveexec_b64 s[6:7], s[2:3]
	s_cbranch_execz .LBB41_60
; %bb.56:                               ;   in Loop: Header=BB41_9 Depth=1
	s_mov_b64 s[8:9], exec
	v_min_i32_e32 v6, v7, v6
	s_brev_b32 s38, -2
.LBB41_57:                              ;   Parent Loop BB41_9 Depth=1
                                        ; =>  This Inner Loop Header: Depth=2
	s_ff1_i32_b64 s39, s[8:9]
	v_readlane_b32 s42, v6, s39
	s_lshl_b64 s[40:41], 1, s39
	s_min_i32 s38, s38, s42
	s_andn2_b64 s[8:9], s[8:9], s[40:41]
	s_cmp_lg_u64 s[8:9], 0
	s_cbranch_scc1 .LBB41_57
; %bb.58:                               ;   in Loop: Header=BB41_9 Depth=1
	v_mbcnt_lo_u32_b32 v6, exec_lo, 0
	v_mbcnt_hi_u32_b32 v6, exec_hi, v6
	v_cmp_eq_u32_e32 vcc, 0, v6
	s_and_saveexec_b64 s[8:9], vcc
	s_xor_b64 s[8:9], exec, s[8:9]
	s_cbranch_execz .LBB41_60
; %bb.59:                               ;   in Loop: Header=BB41_9 Depth=1
	v_mov_b32_e32 v6, s38
	ds_min_i32 v1, v6 offset:2048
.LBB41_60:                              ;   in Loop: Header=BB41_9 Depth=1
	s_or_b64 exec, exec, s[6:7]
	s_mov_b64 s[6:7], 0
	v_mov_b32_e32 v6, 0
	v_mov_b32_e32 v7, v23
	s_waitcnt lgkmcnt(0)
	s_barrier
.LBB41_61:                              ;   Parent Loop BB41_9 Depth=1
                                        ; =>  This Inner Loop Header: Depth=2
	ds_read_u8 v8, v7 offset:512
	v_add_u32_e32 v7, 0x200, v7
	v_cmp_lt_u32_e32 vcc, s56, v7
	s_or_b64 s[6:7], vcc, s[6:7]
	s_waitcnt lgkmcnt(0)
	v_add_u32_e32 v6, v6, v8
	s_andn2_b64 exec, exec, s[6:7]
	s_cbranch_execnz .LBB41_61
; %bb.62:                               ;   in Loop: Header=BB41_9 Depth=1
	s_or_b64 exec, exec, s[6:7]
	v_mov_b32_dpp v7, v6 row_shr:1 row_mask:0xf bank_mask:0xf
	v_add_u32_e32 v6, v7, v6
	s_nop 1
	v_mov_b32_dpp v7, v6 row_shr:2 row_mask:0xf bank_mask:0xf
	v_add_u32_e32 v6, v6, v7
	s_nop 1
	;; [unrolled: 3-line block ×3, first 2 shown]
	v_mov_b32_dpp v7, v6 row_shr:8 row_mask:0xf bank_mask:0xc
	s_and_saveexec_b64 s[6:7], s[2:3]
	s_cbranch_execz .LBB41_8
; %bb.63:                               ;   in Loop: Header=BB41_9 Depth=1
	s_mov_b64 s[8:9], exec
	v_add_u32_e32 v6, v6, v7
	s_mov_b32 s38, 0
.LBB41_64:                              ;   Parent Loop BB41_9 Depth=1
                                        ; =>  This Inner Loop Header: Depth=2
	s_ff1_i32_b64 s39, s[8:9]
	v_readlane_b32 s42, v6, s39
	s_lshl_b64 s[40:41], 1, s39
	s_add_i32 s38, s38, s42
	s_andn2_b64 s[8:9], s[8:9], s[40:41]
	s_cmp_lg_u64 s[8:9], 0
	s_cbranch_scc1 .LBB41_64
; %bb.65:                               ;   in Loop: Header=BB41_9 Depth=1
	v_mbcnt_lo_u32_b32 v6, exec_lo, 0
	v_mbcnt_hi_u32_b32 v6, exec_hi, v6
	v_cmp_eq_u32_e32 vcc, 0, v6
	s_and_saveexec_b64 s[8:9], vcc
	s_xor_b64 s[8:9], exec, s[8:9]
	s_cbranch_execz .LBB41_8
; %bb.66:                               ;   in Loop: Header=BB41_9 Depth=1
	v_mov_b32_e32 v6, s38
	ds_add_u32 v1, v6 offset:2052
	s_branch .LBB41_8
.LBB41_67:
	s_and_saveexec_b64 s[2:3], s[0:1]
	s_cbranch_execz .LBB41_69
; %bb.68:
	s_load_dwordx2 s[0:1], s[4:5], 0x48
	v_mov_b32_e32 v2, 0
	ds_read_b32 v0, v2 offset:2052
	s_ashr_i32 s11, s10, 31
	s_lshl_b64 s[2:3], s[10:11], 3
	s_waitcnt lgkmcnt(0)
	s_add_u32 s0, s0, s2
	s_addc_u32 s1, s1, s3
	v_ashrrev_i32_e32 v1, 31, v0
	global_store_dwordx2 v2, v[0:1], s[0:1]
.LBB41_69:
	s_endpgm
	.section	.rodata,"a",@progbits
	.p2align	6, 0x0
	.amdhsa_kernel _ZN9rocsparseL35csrgemm_nnz_block_per_row_multipassILj512ELj16ELj2048EliEEvT3_PKS1_S3_PKT2_S3_S6_S3_S6_S3_PS4_S7_21rocsparse_index_base_S8_S8_bb
		.amdhsa_group_segment_fixed_size 2056
		.amdhsa_private_segment_fixed_size 0
		.amdhsa_kernarg_size 104
		.amdhsa_user_sgpr_count 6
		.amdhsa_user_sgpr_private_segment_buffer 1
		.amdhsa_user_sgpr_dispatch_ptr 0
		.amdhsa_user_sgpr_queue_ptr 0
		.amdhsa_user_sgpr_kernarg_segment_ptr 1
		.amdhsa_user_sgpr_dispatch_id 0
		.amdhsa_user_sgpr_flat_scratch_init 0
		.amdhsa_user_sgpr_kernarg_preload_length 0
		.amdhsa_user_sgpr_kernarg_preload_offset 0
		.amdhsa_user_sgpr_private_segment_size 0
		.amdhsa_uses_dynamic_stack 0
		.amdhsa_system_sgpr_private_segment_wavefront_offset 0
		.amdhsa_system_sgpr_workgroup_id_x 1
		.amdhsa_system_sgpr_workgroup_id_y 0
		.amdhsa_system_sgpr_workgroup_id_z 0
		.amdhsa_system_sgpr_workgroup_info 0
		.amdhsa_system_vgpr_workitem_id 0
		.amdhsa_next_free_vgpr 29
		.amdhsa_next_free_sgpr 60
		.amdhsa_accum_offset 32
		.amdhsa_reserve_vcc 1
		.amdhsa_reserve_flat_scratch 0
		.amdhsa_float_round_mode_32 0
		.amdhsa_float_round_mode_16_64 0
		.amdhsa_float_denorm_mode_32 3
		.amdhsa_float_denorm_mode_16_64 3
		.amdhsa_dx10_clamp 1
		.amdhsa_ieee_mode 1
		.amdhsa_fp16_overflow 0
		.amdhsa_tg_split 0
		.amdhsa_exception_fp_ieee_invalid_op 0
		.amdhsa_exception_fp_denorm_src 0
		.amdhsa_exception_fp_ieee_div_zero 0
		.amdhsa_exception_fp_ieee_overflow 0
		.amdhsa_exception_fp_ieee_underflow 0
		.amdhsa_exception_fp_ieee_inexact 0
		.amdhsa_exception_int_div_zero 0
	.end_amdhsa_kernel
	.section	.text._ZN9rocsparseL35csrgemm_nnz_block_per_row_multipassILj512ELj16ELj2048EliEEvT3_PKS1_S3_PKT2_S3_S6_S3_S6_S3_PS4_S7_21rocsparse_index_base_S8_S8_bb,"axG",@progbits,_ZN9rocsparseL35csrgemm_nnz_block_per_row_multipassILj512ELj16ELj2048EliEEvT3_PKS1_S3_PKT2_S3_S6_S3_S6_S3_PS4_S7_21rocsparse_index_base_S8_S8_bb,comdat
.Lfunc_end41:
	.size	_ZN9rocsparseL35csrgemm_nnz_block_per_row_multipassILj512ELj16ELj2048EliEEvT3_PKS1_S3_PKT2_S3_S6_S3_S6_S3_PS4_S7_21rocsparse_index_base_S8_S8_bb, .Lfunc_end41-_ZN9rocsparseL35csrgemm_nnz_block_per_row_multipassILj512ELj16ELj2048EliEEvT3_PKS1_S3_PKT2_S3_S6_S3_S6_S3_PS4_S7_21rocsparse_index_base_S8_S8_bb
                                        ; -- End function
	.section	.AMDGPU.csdata,"",@progbits
; Kernel info:
; codeLenInByte = 2052
; NumSgprs: 64
; NumVgprs: 29
; NumAgprs: 0
; TotalNumVgprs: 29
; ScratchSize: 0
; MemoryBound: 0
; FloatMode: 240
; IeeeMode: 1
; LDSByteSize: 2056 bytes/workgroup (compile time only)
; SGPRBlocks: 7
; VGPRBlocks: 3
; NumSGPRsForWavesPerEU: 64
; NumVGPRsForWavesPerEU: 29
; AccumOffset: 32
; Occupancy: 8
; WaveLimiterHint : 1
; COMPUTE_PGM_RSRC2:SCRATCH_EN: 0
; COMPUTE_PGM_RSRC2:USER_SGPR: 6
; COMPUTE_PGM_RSRC2:TRAP_HANDLER: 0
; COMPUTE_PGM_RSRC2:TGID_X_EN: 1
; COMPUTE_PGM_RSRC2:TGID_Y_EN: 0
; COMPUTE_PGM_RSRC2:TGID_Z_EN: 0
; COMPUTE_PGM_RSRC2:TIDIG_COMP_CNT: 0
; COMPUTE_PGM_RSRC3_GFX90A:ACCUM_OFFSET: 7
; COMPUTE_PGM_RSRC3_GFX90A:TG_SPLIT: 0
	.section	.text._ZN9rocsparseL18csrgemm_index_baseILj1ElEEvPT0_,"axG",@progbits,_ZN9rocsparseL18csrgemm_index_baseILj1ElEEvPT0_,comdat
	.globl	_ZN9rocsparseL18csrgemm_index_baseILj1ElEEvPT0_ ; -- Begin function _ZN9rocsparseL18csrgemm_index_baseILj1ElEEvPT0_
	.p2align	8
	.type	_ZN9rocsparseL18csrgemm_index_baseILj1ElEEvPT0_,@function
_ZN9rocsparseL18csrgemm_index_baseILj1ElEEvPT0_: ; @_ZN9rocsparseL18csrgemm_index_baseILj1ElEEvPT0_
; %bb.0:
	s_load_dwordx2 s[0:1], s[4:5], 0x0
	v_mov_b32_e32 v2, 0
	s_waitcnt lgkmcnt(0)
	s_load_dwordx2 s[2:3], s[0:1], 0x0
	s_waitcnt lgkmcnt(0)
	s_add_u32 s2, s2, -1
	s_addc_u32 s3, s3, -1
	v_pk_mov_b32 v[0:1], s[2:3], s[2:3] op_sel:[0,1]
	global_store_dwordx2 v2, v[0:1], s[0:1]
	s_endpgm
	.section	.rodata,"a",@progbits
	.p2align	6, 0x0
	.amdhsa_kernel _ZN9rocsparseL18csrgemm_index_baseILj1ElEEvPT0_
		.amdhsa_group_segment_fixed_size 0
		.amdhsa_private_segment_fixed_size 0
		.amdhsa_kernarg_size 8
		.amdhsa_user_sgpr_count 6
		.amdhsa_user_sgpr_private_segment_buffer 1
		.amdhsa_user_sgpr_dispatch_ptr 0
		.amdhsa_user_sgpr_queue_ptr 0
		.amdhsa_user_sgpr_kernarg_segment_ptr 1
		.amdhsa_user_sgpr_dispatch_id 0
		.amdhsa_user_sgpr_flat_scratch_init 0
		.amdhsa_user_sgpr_kernarg_preload_length 0
		.amdhsa_user_sgpr_kernarg_preload_offset 0
		.amdhsa_user_sgpr_private_segment_size 0
		.amdhsa_uses_dynamic_stack 0
		.amdhsa_system_sgpr_private_segment_wavefront_offset 0
		.amdhsa_system_sgpr_workgroup_id_x 1
		.amdhsa_system_sgpr_workgroup_id_y 0
		.amdhsa_system_sgpr_workgroup_id_z 0
		.amdhsa_system_sgpr_workgroup_info 0
		.amdhsa_system_vgpr_workitem_id 0
		.amdhsa_next_free_vgpr 3
		.amdhsa_next_free_sgpr 6
		.amdhsa_accum_offset 4
		.amdhsa_reserve_vcc 0
		.amdhsa_reserve_flat_scratch 0
		.amdhsa_float_round_mode_32 0
		.amdhsa_float_round_mode_16_64 0
		.amdhsa_float_denorm_mode_32 3
		.amdhsa_float_denorm_mode_16_64 3
		.amdhsa_dx10_clamp 1
		.amdhsa_ieee_mode 1
		.amdhsa_fp16_overflow 0
		.amdhsa_tg_split 0
		.amdhsa_exception_fp_ieee_invalid_op 0
		.amdhsa_exception_fp_denorm_src 0
		.amdhsa_exception_fp_ieee_div_zero 0
		.amdhsa_exception_fp_ieee_overflow 0
		.amdhsa_exception_fp_ieee_underflow 0
		.amdhsa_exception_fp_ieee_inexact 0
		.amdhsa_exception_int_div_zero 0
	.end_amdhsa_kernel
	.section	.text._ZN9rocsparseL18csrgemm_index_baseILj1ElEEvPT0_,"axG",@progbits,_ZN9rocsparseL18csrgemm_index_baseILj1ElEEvPT0_,comdat
.Lfunc_end42:
	.size	_ZN9rocsparseL18csrgemm_index_baseILj1ElEEvPT0_, .Lfunc_end42-_ZN9rocsparseL18csrgemm_index_baseILj1ElEEvPT0_
                                        ; -- End function
	.section	.AMDGPU.csdata,"",@progbits
; Kernel info:
; codeLenInByte = 56
; NumSgprs: 10
; NumVgprs: 3
; NumAgprs: 0
; TotalNumVgprs: 3
; ScratchSize: 0
; MemoryBound: 0
; FloatMode: 240
; IeeeMode: 1
; LDSByteSize: 0 bytes/workgroup (compile time only)
; SGPRBlocks: 1
; VGPRBlocks: 0
; NumSGPRsForWavesPerEU: 10
; NumVGPRsForWavesPerEU: 3
; AccumOffset: 4
; Occupancy: 8
; WaveLimiterHint : 0
; COMPUTE_PGM_RSRC2:SCRATCH_EN: 0
; COMPUTE_PGM_RSRC2:USER_SGPR: 6
; COMPUTE_PGM_RSRC2:TRAP_HANDLER: 0
; COMPUTE_PGM_RSRC2:TGID_X_EN: 1
; COMPUTE_PGM_RSRC2:TGID_Y_EN: 0
; COMPUTE_PGM_RSRC2:TGID_Z_EN: 0
; COMPUTE_PGM_RSRC2:TIDIG_COMP_CNT: 0
; COMPUTE_PGM_RSRC3_GFX90A:ACCUM_OFFSET: 0
; COMPUTE_PGM_RSRC3_GFX90A:TG_SPLIT: 0
	.section	.text._ZN9rocsparseL29csrgemm_intermediate_productsILj256ELj8EllEEvT2_PKT1_PKS1_S4_S4_PS2_21rocsparse_index_base_bb,"axG",@progbits,_ZN9rocsparseL29csrgemm_intermediate_productsILj256ELj8EllEEvT2_PKT1_PKS1_S4_S4_PS2_21rocsparse_index_base_bb,comdat
	.globl	_ZN9rocsparseL29csrgemm_intermediate_productsILj256ELj8EllEEvT2_PKT1_PKS1_S4_S4_PS2_21rocsparse_index_base_bb ; -- Begin function _ZN9rocsparseL29csrgemm_intermediate_productsILj256ELj8EllEEvT2_PKT1_PKS1_S4_S4_PS2_21rocsparse_index_base_bb
	.p2align	8
	.type	_ZN9rocsparseL29csrgemm_intermediate_productsILj256ELj8EllEEvT2_PKT1_PKS1_S4_S4_PS2_21rocsparse_index_base_bb,@function
_ZN9rocsparseL29csrgemm_intermediate_productsILj256ELj8EllEEvT2_PKT1_PKS1_S4_S4_PS2_21rocsparse_index_base_bb: ; @_ZN9rocsparseL29csrgemm_intermediate_productsILj256ELj8EllEEvT2_PKT1_PKS1_S4_S4_PS2_21rocsparse_index_base_bb
; %bb.0:
	s_load_dwordx2 s[0:1], s[4:5], 0x0
	v_lshl_or_b32 v1, s6, 8, v0
	v_lshrrev_b32_e32 v2, 3, v1
	v_mov_b32_e32 v3, 0
	s_waitcnt lgkmcnt(0)
	v_cmp_gt_i64_e32 vcc, s[0:1], v[2:3]
	s_and_saveexec_b64 s[0:1], vcc
	s_cbranch_execz .LBB43_11
; %bb.1:
	s_load_dwordx2 s[6:7], s[4:5], 0x30
	s_load_dwordx4 s[0:3], s[4:5], 0x20
	v_and_b32_e32 v9, 7, v0
	s_mov_b32 s14, 0
	v_pk_mov_b32 v[0:1], 0, 0
	s_waitcnt lgkmcnt(0)
	s_bitcmp0_b32 s7, 0
	v_lshlrev_b32_e32 v8, 3, v2
	s_cbranch_scc1 .LBB43_7
; %bb.2:
	s_load_dwordx2 s[8:9], s[4:5], 0x8
	v_subrev_co_u32_e32 v6, vcc, s6, v9
	s_waitcnt lgkmcnt(0)
	global_load_dwordx4 v[2:5], v8, s[8:9]
	v_subb_co_u32_e64 v7, s[8:9], 0, 0, vcc
	s_waitcnt vmcnt(0)
	v_subrev_co_u32_e32 v0, vcc, s6, v4
	v_subbrev_co_u32_e32 v1, vcc, 0, v5, vcc
	v_add_co_u32_e32 v2, vcc, v6, v2
	v_addc_co_u32_e32 v3, vcc, v7, v3, vcc
	v_cmp_lt_i64_e32 vcc, v[2:3], v[0:1]
	v_pk_mov_b32 v[4:5], 0, 0
	s_and_saveexec_b64 s[12:13], vcc
	s_cbranch_execz .LBB43_6
; %bb.3:
	s_load_dwordx4 s[8:11], s[4:5], 0x10
	v_lshlrev_b64 v[4:5], 3, v[2:3]
	v_mov_b32_e32 v10, s14
	s_waitcnt lgkmcnt(0)
	v_mov_b32_e32 v7, s9
	v_add_co_u32_e32 v6, vcc, s8, v4
	v_addc_co_u32_e32 v7, vcc, v7, v5, vcc
	s_mov_b64 s[8:9], 0
	v_pk_mov_b32 v[4:5], 0, 0
	v_mov_b32_e32 v11, s11
.LBB43_4:                               ; =>This Inner Loop Header: Depth=1
	global_load_dwordx2 v[12:13], v[6:7], off
	s_waitcnt vmcnt(0)
	v_subrev_co_u32_e32 v12, vcc, s6, v12
	v_subb_co_u32_e32 v13, vcc, v13, v10, vcc
	v_lshlrev_b64 v[12:13], 3, v[12:13]
	v_add_co_u32_e32 v12, vcc, s10, v12
	v_addc_co_u32_e32 v13, vcc, v11, v13, vcc
	global_load_dwordx4 v[12:15], v[12:13], off
	v_add_co_u32_e32 v2, vcc, 8, v2
	v_addc_co_u32_e32 v3, vcc, 0, v3, vcc
	v_add_co_u32_e32 v6, vcc, 64, v6
	v_addc_co_u32_e32 v7, vcc, 0, v7, vcc
	v_cmp_ge_i64_e32 vcc, v[2:3], v[0:1]
	s_or_b64 s[8:9], vcc, s[8:9]
	s_waitcnt vmcnt(0)
	v_add_co_u32_e32 v4, vcc, v14, v4
	v_addc_co_u32_e32 v5, vcc, v15, v5, vcc
	v_sub_co_u32_e32 v4, vcc, v4, v12
	v_subb_co_u32_e32 v5, vcc, v5, v13, vcc
	s_andn2_b64 exec, exec, s[8:9]
	s_cbranch_execnz .LBB43_4
; %bb.5:
	s_or_b64 exec, exec, s[8:9]
.LBB43_6:
	s_or_b64 exec, exec, s[12:13]
	v_mov_b32_dpp v0, v4 row_shr:1 row_mask:0xf bank_mask:0xf
	v_add_co_u32_e32 v0, vcc, v4, v0
	v_addc_co_u32_e32 v2, vcc, 0, v5, vcc
	v_mov_b32_dpp v1, v5 row_shr:1 row_mask:0xf bank_mask:0xf
	v_add_co_u32_e32 v3, vcc, 0, v0
	v_addc_co_u32_e32 v1, vcc, v1, v2, vcc
	v_mov_b32_dpp v0, v0 row_shr:2 row_mask:0xf bank_mask:0xf
	v_add_co_u32_e32 v0, vcc, v3, v0
	v_mov_b32_dpp v2, v1 row_shr:2 row_mask:0xf bank_mask:0xf
	v_addc_co_u32_e32 v1, vcc, 0, v1, vcc
	v_add_co_u32_e32 v3, vcc, 0, v0
	v_addc_co_u32_e32 v1, vcc, v1, v2, vcc
	v_mov_b32_dpp v0, v0 row_shr:4 row_mask:0xf bank_mask:0xe
	s_nop 0
	v_mov_b32_dpp v2, v1 row_shr:4 row_mask:0xf bank_mask:0xe
	v_add_co_u32_e32 v0, vcc, v0, v3
	v_addc_co_u32_e32 v1, vcc, v2, v1, vcc
.LBB43_7:
	v_cmp_eq_u32_e32 vcc, 7, v9
	s_and_b64 exec, exec, vcc
	s_cbranch_execz .LBB43_11
; %bb.8:
	s_load_dword s4, s[4:5], 0x34
	s_waitcnt lgkmcnt(0)
	s_bfe_u32 s4, s4, 0x10008
	s_cmp_eq_u32 s4, 0
	s_cbranch_scc1 .LBB43_10
; %bb.9:
	global_load_dwordx4 v[2:5], v8, s[0:1]
	s_waitcnt vmcnt(0)
	v_add_co_u32_e32 v0, vcc, v4, v0
	v_addc_co_u32_e32 v1, vcc, v5, v1, vcc
	v_sub_co_u32_e32 v0, vcc, v0, v2
	v_subb_co_u32_e32 v1, vcc, v1, v3, vcc
.LBB43_10:
	global_store_dwordx2 v8, v[0:1], s[2:3]
.LBB43_11:
	s_endpgm
	.section	.rodata,"a",@progbits
	.p2align	6, 0x0
	.amdhsa_kernel _ZN9rocsparseL29csrgemm_intermediate_productsILj256ELj8EllEEvT2_PKT1_PKS1_S4_S4_PS2_21rocsparse_index_base_bb
		.amdhsa_group_segment_fixed_size 0
		.amdhsa_private_segment_fixed_size 0
		.amdhsa_kernarg_size 56
		.amdhsa_user_sgpr_count 6
		.amdhsa_user_sgpr_private_segment_buffer 1
		.amdhsa_user_sgpr_dispatch_ptr 0
		.amdhsa_user_sgpr_queue_ptr 0
		.amdhsa_user_sgpr_kernarg_segment_ptr 1
		.amdhsa_user_sgpr_dispatch_id 0
		.amdhsa_user_sgpr_flat_scratch_init 0
		.amdhsa_user_sgpr_kernarg_preload_length 0
		.amdhsa_user_sgpr_kernarg_preload_offset 0
		.amdhsa_user_sgpr_private_segment_size 0
		.amdhsa_uses_dynamic_stack 0
		.amdhsa_system_sgpr_private_segment_wavefront_offset 0
		.amdhsa_system_sgpr_workgroup_id_x 1
		.amdhsa_system_sgpr_workgroup_id_y 0
		.amdhsa_system_sgpr_workgroup_id_z 0
		.amdhsa_system_sgpr_workgroup_info 0
		.amdhsa_system_vgpr_workitem_id 0
		.amdhsa_next_free_vgpr 16
		.amdhsa_next_free_sgpr 15
		.amdhsa_accum_offset 16
		.amdhsa_reserve_vcc 1
		.amdhsa_reserve_flat_scratch 0
		.amdhsa_float_round_mode_32 0
		.amdhsa_float_round_mode_16_64 0
		.amdhsa_float_denorm_mode_32 3
		.amdhsa_float_denorm_mode_16_64 3
		.amdhsa_dx10_clamp 1
		.amdhsa_ieee_mode 1
		.amdhsa_fp16_overflow 0
		.amdhsa_tg_split 0
		.amdhsa_exception_fp_ieee_invalid_op 0
		.amdhsa_exception_fp_denorm_src 0
		.amdhsa_exception_fp_ieee_div_zero 0
		.amdhsa_exception_fp_ieee_overflow 0
		.amdhsa_exception_fp_ieee_underflow 0
		.amdhsa_exception_fp_ieee_inexact 0
		.amdhsa_exception_int_div_zero 0
	.end_amdhsa_kernel
	.section	.text._ZN9rocsparseL29csrgemm_intermediate_productsILj256ELj8EllEEvT2_PKT1_PKS1_S4_S4_PS2_21rocsparse_index_base_bb,"axG",@progbits,_ZN9rocsparseL29csrgemm_intermediate_productsILj256ELj8EllEEvT2_PKT1_PKS1_S4_S4_PS2_21rocsparse_index_base_bb,comdat
.Lfunc_end43:
	.size	_ZN9rocsparseL29csrgemm_intermediate_productsILj256ELj8EllEEvT2_PKT1_PKS1_S4_S4_PS2_21rocsparse_index_base_bb, .Lfunc_end43-_ZN9rocsparseL29csrgemm_intermediate_productsILj256ELj8EllEEvT2_PKT1_PKS1_S4_S4_PS2_21rocsparse_index_base_bb
                                        ; -- End function
	.section	.AMDGPU.csdata,"",@progbits
; Kernel info:
; codeLenInByte = 488
; NumSgprs: 19
; NumVgprs: 16
; NumAgprs: 0
; TotalNumVgprs: 16
; ScratchSize: 0
; MemoryBound: 1
; FloatMode: 240
; IeeeMode: 1
; LDSByteSize: 0 bytes/workgroup (compile time only)
; SGPRBlocks: 2
; VGPRBlocks: 1
; NumSGPRsForWavesPerEU: 19
; NumVGPRsForWavesPerEU: 16
; AccumOffset: 16
; Occupancy: 8
; WaveLimiterHint : 1
; COMPUTE_PGM_RSRC2:SCRATCH_EN: 0
; COMPUTE_PGM_RSRC2:USER_SGPR: 6
; COMPUTE_PGM_RSRC2:TRAP_HANDLER: 0
; COMPUTE_PGM_RSRC2:TGID_X_EN: 1
; COMPUTE_PGM_RSRC2:TGID_Y_EN: 0
; COMPUTE_PGM_RSRC2:TGID_Z_EN: 0
; COMPUTE_PGM_RSRC2:TIDIG_COMP_CNT: 0
; COMPUTE_PGM_RSRC3_GFX90A:ACCUM_OFFSET: 3
; COMPUTE_PGM_RSRC3_GFX90A:TG_SPLIT: 0
	.section	.text._ZN9rocsparseL26csrgemm_group_reduce_part1ILj256ELj11EllEEvT2_PT1_PS1_j,"axG",@progbits,_ZN9rocsparseL26csrgemm_group_reduce_part1ILj256ELj11EllEEvT2_PT1_PS1_j,comdat
	.globl	_ZN9rocsparseL26csrgemm_group_reduce_part1ILj256ELj11EllEEvT2_PT1_PS1_j ; -- Begin function _ZN9rocsparseL26csrgemm_group_reduce_part1ILj256ELj11EllEEvT2_PT1_PS1_j
	.p2align	8
	.type	_ZN9rocsparseL26csrgemm_group_reduce_part1ILj256ELj11EllEEvT2_PT1_PS1_j,@function
_ZN9rocsparseL26csrgemm_group_reduce_part1ILj256ELj11EllEEvT2_PT1_PS1_j: ; @_ZN9rocsparseL26csrgemm_group_reduce_part1ILj256ELj11EllEEvT2_PT1_PS1_j
; %bb.0:
	s_mov_b32 s9, 0
	v_mul_u32_u24_e32 v1, 11, v0
	s_mov_b32 s8, s9
	s_mov_b32 s10, s9
	;; [unrolled: 1-line block ×3, first 2 shown]
	s_load_dwordx2 s[2:3], s[4:5], 0x0
	s_load_dwordx2 s[0:1], s[4:5], 0x10
	v_lshlrev_b32_e32 v1, 3, v1
	v_pk_mov_b32 v[2:3], s[8:9], s[8:9] op_sel:[0,1]
	v_pk_mov_b32 v[4:5], s[10:11], s[10:11] op_sel:[0,1]
	ds_write2_b64 v1, v[2:3], v[4:5] offset1:1
	ds_write2_b64 v1, v[2:3], v[4:5] offset0:2 offset1:3
	ds_write2_b64 v1, v[2:3], v[4:5] offset0:4 offset1:5
	;; [unrolled: 1-line block ×4, first 2 shown]
	v_mov_b32_e32 v3, 0
	v_lshl_or_b32 v6, s6, 8, v0
	v_mov_b32_e32 v2, v3
	ds_write_b64 v1, v[2:3] offset:80
	v_mov_b32_e32 v2, v6
	s_waitcnt lgkmcnt(0)
	v_cmp_gt_i64_e32 vcc, s[2:3], v[2:3]
	s_and_saveexec_b64 s[10:11], vcc
	s_cbranch_execz .LBB44_21
; %bb.1:
	s_load_dwordx2 s[16:17], s[4:5], 0x8
	s_load_dword s7, s[4:5], 0x18
	s_load_dword s8, s[4:5], 0x20
	v_lshlrev_b64 v[4:5], 3, v[2:3]
	v_add_u32_e32 v12, 16, v1
	s_waitcnt lgkmcnt(0)
	v_mov_b32_e32 v6, s17
	s_cmp_lt_u32 s7, 0x20000
	s_cselect_b64 s[4:5], -1, 0
	s_cmp_lt_u32 s7, 0x40000
	s_cselect_b64 s[12:13], -1, 0
	;; [unrolled: 2-line block ×3, first 2 shown]
	s_lshl_b32 s8, s8, 8
	v_add_co_u32_e32 v4, vcc, s16, v4
	s_lshl_b64 s[16:17], s[8:9], 3
	v_add_u32_e32 v13, 32, v1
	v_add_u32_e32 v14, 48, v1
	;; [unrolled: 1-line block ×9, first 2 shown]
	v_addc_co_u32_e32 v5, vcc, v6, v5, vcc
	s_mov_b64 s[18:19], 0
	s_mov_b64 s[20:21], 0x200
	;; [unrolled: 1-line block ×9, first 2 shown]
	v_mov_b32_e32 v22, s9
	v_mov_b32_e32 v23, s17
	v_pk_mov_b32 v[6:7], v[2:3], v[2:3] op_sel:[0,1]
	s_branch .LBB44_11
.LBB44_2:                               ;   in Loop: Header=BB44_11 Depth=1
	s_or_b64 exec, exec, s[54:55]
.LBB44_3:                               ;   in Loop: Header=BB44_11 Depth=1
	s_or_b64 exec, exec, s[52:53]
.LBB44_4:                               ;   in Loop: Header=BB44_11 Depth=1
	s_or_b64 exec, exec, s[50:51]
.LBB44_5:                               ;   in Loop: Header=BB44_11 Depth=1
	s_or_b64 exec, exec, s[48:49]
.LBB44_6:                               ;   in Loop: Header=BB44_11 Depth=1
	s_or_b64 exec, exec, s[46:47]
.LBB44_7:                               ;   in Loop: Header=BB44_11 Depth=1
	s_or_b64 exec, exec, s[44:45]
.LBB44_8:                               ;   in Loop: Header=BB44_11 Depth=1
	s_or_b64 exec, exec, s[42:43]
.LBB44_9:                               ;   in Loop: Header=BB44_11 Depth=1
	s_or_b64 exec, exec, s[40:41]
.LBB44_10:                              ;   in Loop: Header=BB44_11 Depth=1
	s_or_b64 exec, exec, s[38:39]
	ds_read_b64 v[10:11], v24
	global_store_dwordx2 v[4:5], v[8:9], off
	s_waitcnt lgkmcnt(0)
	v_add_co_u32_e32 v8, vcc, 1, v10
	v_addc_co_u32_e32 v9, vcc, 0, v11, vcc
	v_add_co_u32_e32 v6, vcc, s8, v6
	v_addc_co_u32_e32 v7, vcc, v7, v22, vcc
	v_cmp_le_i64_e32 vcc, s[2:3], v[6:7]
	s_or_b64 s[18:19], vcc, s[18:19]
	v_add_co_u32_e32 v4, vcc, s16, v4
	v_addc_co_u32_e32 v5, vcc, v5, v23, vcc
	ds_write_b64 v24, v[8:9]
	s_andn2_b64 exec, exec, s[18:19]
	s_cbranch_execz .LBB44_21
.LBB44_11:                              ; =>This Inner Loop Header: Depth=1
	global_load_dwordx2 v[10:11], v[4:5], off
	v_pk_mov_b32 v[8:9], 0, 0
	v_mov_b32_e32 v24, v1
	s_waitcnt vmcnt(0)
	v_cmp_lt_i64_e32 vcc, 32, v[10:11]
	s_and_saveexec_b64 s[38:39], vcc
	s_cbranch_execz .LBB44_10
; %bb.12:                               ;   in Loop: Header=BB44_11 Depth=1
	v_mov_b32_e32 v8, 1
	v_cmp_lt_u64_e32 vcc, 64, v[10:11]
	v_mov_b32_e32 v9, 0
	v_mov_b32_e32 v24, v17
	s_and_saveexec_b64 s[40:41], vcc
	s_cbranch_execz .LBB44_9
; %bb.13:                               ;   in Loop: Header=BB44_11 Depth=1
	v_mov_b32_e32 v8, 2
	v_cmp_lt_u64_e32 vcc, s[20:21], v[10:11]
	v_mov_b32_e32 v9, 0
	v_mov_b32_e32 v24, v12
	;; [unrolled: 7-line block ×6, first 2 shown]
	s_and_saveexec_b64 s[50:51], vcc
	s_cbranch_execz .LBB44_4
; %bb.18:                               ;   in Loop: Header=BB44_11 Depth=1
	v_cmp_lt_u64_e32 vcc, s[30:31], v[10:11]
	v_mov_b32_e32 v8, 7
	s_or_b64 s[54:55], s[4:5], vcc
	v_mov_b32_e32 v9, 0
	v_mov_b32_e32 v24, v20
	s_and_saveexec_b64 s[52:53], s[54:55]
	s_cbranch_execz .LBB44_3
; %bb.19:                               ;   in Loop: Header=BB44_11 Depth=1
	v_cmp_lt_u64_e32 vcc, s[34:35], v[10:11]
	v_mov_b32_e32 v8, 8
	s_or_b64 s[56:57], s[12:13], vcc
	v_mov_b32_e32 v9, 0
	v_mov_b32_e32 v24, v15
	s_and_saveexec_b64 s[54:55], s[56:57]
	s_cbranch_execz .LBB44_2
; %bb.20:                               ;   in Loop: Header=BB44_11 Depth=1
	v_cmp_lt_u64_e32 vcc, s[36:37], v[10:11]
	s_or_b64 vcc, s[14:15], vcc
	v_cndmask_b32_e64 v2, 9, 10, vcc
	v_cndmask_b32_e32 v24, v21, v16, vcc
	v_pk_mov_b32 v[8:9], v[2:3], v[2:3] op_sel:[0,1]
	s_branch .LBB44_2
.LBB44_21:
	s_or_b64 exec, exec, s[10:11]
	s_movk_i32 s2, 0x80
	v_cmp_gt_u32_e32 vcc, s2, v0
	s_waitcnt lgkmcnt(0)
	s_barrier
	s_barrier
	;; [unrolled: 1-line block ×3, first 2 shown]
	s_and_saveexec_b64 s[2:3], vcc
	s_cbranch_execz .LBB44_23
; %bb.22:
	v_add_u32_e32 v2, 0x2c00, v1
	ds_read2_b64 v[2:5], v2 offset1:1
	ds_read2_b64 v[6:9], v1 offset1:1
	ds_read2_b64 v[10:13], v1 offset0:2 offset1:3
	ds_read2_b64 v[14:17], v1 offset0:8 offset1:9
	;; [unrolled: 1-line block ×3, first 2 shown]
	s_waitcnt lgkmcnt(3)
	v_add_co_u32_e32 v6, vcc, v6, v2
	v_addc_co_u32_e32 v7, vcc, v7, v3, vcc
	v_add_co_u32_e32 v8, vcc, v8, v4
	v_add_u32_e32 v2, 0x2c10, v1
	v_addc_co_u32_e32 v9, vcc, v9, v5, vcc
	ds_read2_b64 v[2:5], v2 offset1:1
	ds_write2_b64 v1, v[6:7], v[8:9] offset1:1
	v_add_u32_e32 v6, 0x2c20, v1
	ds_read2_b64 v[6:9], v6 offset1:1
	s_waitcnt lgkmcnt(2)
	v_add_co_u32_e32 v2, vcc, v10, v2
	v_addc_co_u32_e32 v3, vcc, v11, v3, vcc
	v_add_co_u32_e32 v4, vcc, v12, v4
	v_addc_co_u32_e32 v5, vcc, v13, v5, vcc
	ds_write2_b64 v1, v[2:3], v[4:5] offset0:2 offset1:3
	ds_read2_b64 v[2:5], v1 offset0:6 offset1:7
	s_waitcnt lgkmcnt(2)
	v_add_co_u32_e32 v10, vcc, v18, v6
	v_addc_co_u32_e32 v11, vcc, v19, v7, vcc
	v_add_co_u32_e32 v12, vcc, v20, v8
	v_add_u32_e32 v6, 0x2c30, v1
	v_addc_co_u32_e32 v13, vcc, v21, v9, vcc
	ds_read2_b64 v[6:9], v6 offset1:1
	ds_write2_b64 v1, v[10:11], v[12:13] offset0:4 offset1:5
	v_add_u32_e32 v10, 0x2c40, v1
	ds_read2_b64 v[10:13], v10 offset1:1
	s_waitcnt lgkmcnt(2)
	v_add_co_u32_e32 v2, vcc, v2, v6
	v_addc_co_u32_e32 v3, vcc, v3, v7, vcc
	v_add_co_u32_e32 v4, vcc, v4, v8
	v_addc_co_u32_e32 v5, vcc, v5, v9, vcc
	ds_write2_b64 v1, v[2:3], v[4:5] offset0:6 offset1:7
	v_add_u32_e32 v2, 0x50, v1
	ds_read2st64_b64 v[2:5], v2 offset1:22
	s_waitcnt lgkmcnt(2)
	v_add_co_u32_e32 v6, vcc, v14, v10
	v_addc_co_u32_e32 v7, vcc, v15, v11, vcc
	v_add_co_u32_e32 v8, vcc, v16, v12
	v_addc_co_u32_e32 v9, vcc, v17, v13, vcc
	s_waitcnt lgkmcnt(0)
	v_add_co_u32_e32 v2, vcc, v2, v4
	v_addc_co_u32_e32 v3, vcc, v3, v5, vcc
	ds_write2_b64 v1, v[6:7], v[8:9] offset0:8 offset1:9
	ds_write_b64 v1, v[2:3] offset:80
.LBB44_23:
	s_or_b64 exec, exec, s[2:3]
	v_cmp_gt_u32_e32 vcc, 64, v0
	s_waitcnt lgkmcnt(0)
	s_barrier
	s_and_saveexec_b64 s[2:3], vcc
	s_cbranch_execz .LBB44_25
; %bb.24:
	v_add_u32_e32 v2, 0x1600, v1
	ds_read2_b64 v[2:5], v2 offset1:1
	ds_read2_b64 v[6:9], v1 offset1:1
	ds_read2_b64 v[10:13], v1 offset0:2 offset1:3
	ds_read2_b64 v[14:17], v1 offset0:8 offset1:9
	;; [unrolled: 1-line block ×3, first 2 shown]
	s_waitcnt lgkmcnt(3)
	v_add_co_u32_e32 v6, vcc, v6, v2
	v_addc_co_u32_e32 v7, vcc, v7, v3, vcc
	v_add_co_u32_e32 v8, vcc, v8, v4
	v_add_u32_e32 v2, 0x1610, v1
	v_addc_co_u32_e32 v9, vcc, v9, v5, vcc
	ds_read2_b64 v[2:5], v2 offset1:1
	ds_write2_b64 v1, v[6:7], v[8:9] offset1:1
	v_add_u32_e32 v6, 0x1620, v1
	ds_read2_b64 v[6:9], v6 offset1:1
	s_waitcnt lgkmcnt(2)
	v_add_co_u32_e32 v2, vcc, v10, v2
	v_addc_co_u32_e32 v3, vcc, v11, v3, vcc
	v_add_co_u32_e32 v4, vcc, v12, v4
	v_addc_co_u32_e32 v5, vcc, v13, v5, vcc
	ds_write2_b64 v1, v[2:3], v[4:5] offset0:2 offset1:3
	ds_read2_b64 v[2:5], v1 offset0:6 offset1:7
	s_waitcnt lgkmcnt(2)
	v_add_co_u32_e32 v10, vcc, v18, v6
	v_addc_co_u32_e32 v11, vcc, v19, v7, vcc
	v_add_co_u32_e32 v12, vcc, v20, v8
	v_add_u32_e32 v6, 0x1630, v1
	v_addc_co_u32_e32 v13, vcc, v21, v9, vcc
	ds_read2_b64 v[6:9], v6 offset1:1
	ds_write2_b64 v1, v[10:11], v[12:13] offset0:4 offset1:5
	v_add_u32_e32 v10, 0x1640, v1
	ds_read2_b64 v[10:13], v10 offset1:1
	s_waitcnt lgkmcnt(2)
	v_add_co_u32_e32 v2, vcc, v2, v6
	v_addc_co_u32_e32 v3, vcc, v3, v7, vcc
	v_add_co_u32_e32 v4, vcc, v4, v8
	v_addc_co_u32_e32 v5, vcc, v5, v9, vcc
	ds_write2_b64 v1, v[2:3], v[4:5] offset0:6 offset1:7
	v_add_u32_e32 v2, 0x50, v1
	ds_read2st64_b64 v[2:5], v2 offset1:11
	s_waitcnt lgkmcnt(2)
	v_add_co_u32_e32 v6, vcc, v14, v10
	v_addc_co_u32_e32 v7, vcc, v15, v11, vcc
	v_add_co_u32_e32 v8, vcc, v16, v12
	v_addc_co_u32_e32 v9, vcc, v17, v13, vcc
	s_waitcnt lgkmcnt(0)
	v_add_co_u32_e32 v2, vcc, v2, v4
	v_addc_co_u32_e32 v3, vcc, v3, v5, vcc
	ds_write2_b64 v1, v[6:7], v[8:9] offset0:8 offset1:9
	ds_write_b64 v1, v[2:3] offset:80
.LBB44_25:
	s_or_b64 exec, exec, s[2:3]
	v_cmp_gt_u32_e32 vcc, 32, v0
	s_waitcnt lgkmcnt(0)
	s_barrier
	s_and_saveexec_b64 s[2:3], vcc
	s_cbranch_execz .LBB44_27
; %bb.26:
	v_add_u32_e32 v2, 0xb00, v1
	ds_read2_b64 v[2:5], v2 offset1:1
	ds_read2_b64 v[6:9], v1 offset1:1
	ds_read2_b64 v[10:13], v1 offset0:2 offset1:3
	ds_read_b64 v[18:19], v1 offset:2896
	ds_read2_b64 v[14:17], v1 offset0:4 offset1:5
	s_waitcnt lgkmcnt(3)
	v_add_co_u32_e32 v6, vcc, v6, v2
	v_addc_co_u32_e32 v7, vcc, v7, v3, vcc
	v_add_co_u32_e32 v8, vcc, v8, v4
	v_add_u32_e32 v2, 0xb10, v1
	v_addc_co_u32_e32 v9, vcc, v9, v5, vcc
	ds_read2_b64 v[2:5], v2 offset1:1
	ds_write2_b64 v1, v[6:7], v[8:9] offset1:1
	v_add_u32_e32 v6, 0xb20, v1
	ds_read2_b64 v[6:9], v6 offset1:1
	s_waitcnt lgkmcnt(2)
	v_add_co_u32_e32 v2, vcc, v10, v2
	v_addc_co_u32_e32 v3, vcc, v11, v3, vcc
	v_add_co_u32_e32 v4, vcc, v12, v4
	v_addc_co_u32_e32 v5, vcc, v13, v5, vcc
	ds_write2_b64 v1, v[2:3], v[4:5] offset0:2 offset1:3
	ds_read2_b64 v[2:5], v1 offset0:6 offset1:7
	s_waitcnt lgkmcnt(2)
	v_add_co_u32_e32 v10, vcc, v14, v6
	v_addc_co_u32_e32 v11, vcc, v15, v7, vcc
	v_add_co_u32_e32 v12, vcc, v16, v8
	v_add_u32_e32 v6, 0xb30, v1
	v_addc_co_u32_e32 v13, vcc, v17, v9, vcc
	ds_read2_b64 v[6:9], v6 offset1:1
	ds_write2_b64 v1, v[10:11], v[12:13] offset0:4 offset1:5
	v_add_u32_e32 v10, 0xb40, v1
	ds_read2_b64 v[10:13], v10 offset1:1
	ds_read2_b64 v[14:17], v1 offset0:8 offset1:9
	s_waitcnt lgkmcnt(3)
	v_add_co_u32_e32 v2, vcc, v2, v6
	v_addc_co_u32_e32 v3, vcc, v3, v7, vcc
	v_add_co_u32_e32 v4, vcc, v4, v8
	v_addc_co_u32_e32 v5, vcc, v5, v9, vcc
	ds_write2_b64 v1, v[2:3], v[4:5] offset0:6 offset1:7
	ds_read_b64 v[2:3], v1 offset:80
	s_waitcnt lgkmcnt(2)
	v_add_co_u32_e32 v4, vcc, v14, v10
	v_addc_co_u32_e32 v5, vcc, v15, v11, vcc
	v_add_co_u32_e32 v6, vcc, v16, v12
	v_addc_co_u32_e32 v7, vcc, v17, v13, vcc
	s_waitcnt lgkmcnt(0)
	v_add_co_u32_e32 v2, vcc, v2, v18
	v_addc_co_u32_e32 v3, vcc, v3, v19, vcc
	ds_write2_b64 v1, v[4:5], v[6:7] offset0:8 offset1:9
	ds_write_b64 v1, v[2:3] offset:80
.LBB44_27:
	s_or_b64 exec, exec, s[2:3]
	v_cmp_gt_u32_e32 vcc, 16, v0
	s_waitcnt lgkmcnt(0)
	s_barrier
	s_and_saveexec_b64 s[2:3], vcc
	s_cbranch_execz .LBB44_29
; %bb.28:
	ds_read2_b64 v[2:5], v1 offset0:176 offset1:177
	ds_read2_b64 v[6:9], v1 offset1:1
	ds_read2_b64 v[10:13], v1 offset0:2 offset1:3
	ds_read2_b64 v[14:17], v1 offset0:8 offset1:9
	ds_read2_b64 v[18:21], v1 offset0:178 offset1:179
	s_waitcnt lgkmcnt(3)
	v_add_co_u32_e32 v2, vcc, v6, v2
	v_addc_co_u32_e32 v3, vcc, v7, v3, vcc
	v_add_co_u32_e32 v4, vcc, v8, v4
	v_addc_co_u32_e32 v5, vcc, v9, v5, vcc
	ds_write2_b64 v1, v[2:3], v[4:5] offset1:1
	ds_read2_b64 v[2:5], v1 offset0:180 offset1:181
	s_waitcnt lgkmcnt(2)
	v_add_co_u32_e32 v10, vcc, v10, v18
	ds_read2_b64 v[6:9], v1 offset0:4 offset1:5
	v_addc_co_u32_e32 v11, vcc, v11, v19, vcc
	v_add_co_u32_e32 v12, vcc, v12, v20
	v_addc_co_u32_e32 v13, vcc, v13, v21, vcc
	ds_write2_b64 v1, v[10:11], v[12:13] offset0:2 offset1:3
	ds_read2_b64 v[10:13], v1 offset0:6 offset1:7
	ds_read2_b64 v[18:21], v1 offset0:182 offset1:183
	s_waitcnt lgkmcnt(3)
	v_add_co_u32_e32 v2, vcc, v6, v2
	v_addc_co_u32_e32 v3, vcc, v7, v3, vcc
	v_add_co_u32_e32 v4, vcc, v8, v4
	v_addc_co_u32_e32 v5, vcc, v9, v5, vcc
	ds_write2_b64 v1, v[2:3], v[4:5] offset0:4 offset1:5
	ds_read2_b64 v[2:5], v1 offset0:184 offset1:185
	s_waitcnt lgkmcnt(2)
	v_add_co_u32_e32 v6, vcc, v10, v18
	v_addc_co_u32_e32 v7, vcc, v11, v19, vcc
	v_add_co_u32_e32 v8, vcc, v12, v20
	v_addc_co_u32_e32 v9, vcc, v13, v21, vcc
	ds_write2_b64 v1, v[6:7], v[8:9] offset0:6 offset1:7
	ds_read2_b64 v[6:9], v1 offset0:10 offset1:186
	s_waitcnt lgkmcnt(2)
	v_add_co_u32_e32 v2, vcc, v14, v2
	v_addc_co_u32_e32 v3, vcc, v15, v3, vcc
	v_add_co_u32_e32 v4, vcc, v16, v4
	v_addc_co_u32_e32 v5, vcc, v17, v5, vcc
	ds_write2_b64 v1, v[2:3], v[4:5] offset0:8 offset1:9
	s_waitcnt lgkmcnt(1)
	v_add_co_u32_e32 v2, vcc, v6, v8
	v_addc_co_u32_e32 v3, vcc, v7, v9, vcc
	ds_write_b64 v1, v[2:3] offset:80
.LBB44_29:
	s_or_b64 exec, exec, s[2:3]
	v_cmp_gt_u32_e32 vcc, 8, v0
	s_waitcnt lgkmcnt(0)
	s_barrier
	s_and_saveexec_b64 s[2:3], vcc
	s_cbranch_execz .LBB44_31
; %bb.30:
	ds_read2_b64 v[2:5], v1 offset0:88 offset1:89
	ds_read2_b64 v[6:9], v1 offset1:1
	ds_read2_b64 v[10:13], v1 offset0:2 offset1:3
	ds_read2_b64 v[14:17], v1 offset0:8 offset1:9
	ds_read2_b64 v[18:21], v1 offset0:90 offset1:91
	s_waitcnt lgkmcnt(3)
	v_add_co_u32_e32 v2, vcc, v6, v2
	v_addc_co_u32_e32 v3, vcc, v7, v3, vcc
	v_add_co_u32_e32 v4, vcc, v8, v4
	v_addc_co_u32_e32 v5, vcc, v9, v5, vcc
	ds_write2_b64 v1, v[2:3], v[4:5] offset1:1
	ds_read2_b64 v[2:5], v1 offset0:92 offset1:93
	s_waitcnt lgkmcnt(2)
	v_add_co_u32_e32 v10, vcc, v10, v18
	ds_read2_b64 v[6:9], v1 offset0:4 offset1:5
	v_addc_co_u32_e32 v11, vcc, v11, v19, vcc
	v_add_co_u32_e32 v12, vcc, v12, v20
	v_addc_co_u32_e32 v13, vcc, v13, v21, vcc
	ds_write2_b64 v1, v[10:11], v[12:13] offset0:2 offset1:3
	ds_read2_b64 v[10:13], v1 offset0:6 offset1:7
	ds_read2_b64 v[18:21], v1 offset0:94 offset1:95
	s_waitcnt lgkmcnt(3)
	v_add_co_u32_e32 v2, vcc, v6, v2
	v_addc_co_u32_e32 v3, vcc, v7, v3, vcc
	v_add_co_u32_e32 v4, vcc, v8, v4
	v_addc_co_u32_e32 v5, vcc, v9, v5, vcc
	ds_write2_b64 v1, v[2:3], v[4:5] offset0:4 offset1:5
	ds_read2_b64 v[2:5], v1 offset0:96 offset1:97
	s_waitcnt lgkmcnt(2)
	v_add_co_u32_e32 v6, vcc, v10, v18
	v_addc_co_u32_e32 v7, vcc, v11, v19, vcc
	v_add_co_u32_e32 v8, vcc, v12, v20
	v_addc_co_u32_e32 v9, vcc, v13, v21, vcc
	ds_write2_b64 v1, v[6:7], v[8:9] offset0:6 offset1:7
	ds_read2_b64 v[6:9], v1 offset0:10 offset1:98
	s_waitcnt lgkmcnt(2)
	v_add_co_u32_e32 v2, vcc, v14, v2
	v_addc_co_u32_e32 v3, vcc, v15, v3, vcc
	v_add_co_u32_e32 v4, vcc, v16, v4
	v_addc_co_u32_e32 v5, vcc, v17, v5, vcc
	ds_write2_b64 v1, v[2:3], v[4:5] offset0:8 offset1:9
	s_waitcnt lgkmcnt(1)
	v_add_co_u32_e32 v2, vcc, v6, v8
	v_addc_co_u32_e32 v3, vcc, v7, v9, vcc
	ds_write_b64 v1, v[2:3] offset:80
.LBB44_31:
	;; [unrolled: 53-line block ×4, first 2 shown]
	s_or_b64 exec, exec, s[2:3]
	v_cmp_eq_u32_e32 vcc, 0, v0
	s_waitcnt lgkmcnt(0)
	s_barrier
	s_and_saveexec_b64 s[2:3], vcc
	s_cbranch_execz .LBB44_37
; %bb.36:
	v_mov_b32_e32 v1, 0
	ds_read_b128 v[2:5], v1 offset:80
	ds_read_b128 v[6:9], v1
	ds_read_b128 v[10:13], v1 offset:16
	ds_read_b128 v[14:17], v1 offset:32
	;; [unrolled: 1-line block ×5, first 2 shown]
	s_waitcnt lgkmcnt(5)
	v_add_co_u32_e32 v4, vcc, v6, v4
	v_addc_co_u32_e32 v5, vcc, v7, v5, vcc
	ds_read_b128 v[30:33], v1 offset:112
	s_waitcnt lgkmcnt(2)
	v_add_co_u32_e32 v6, vcc, v8, v22
	v_addc_co_u32_e32 v7, vcc, v9, v23, vcc
	ds_write_b128 v1, v[4:7]
	v_add_co_u32_e32 v4, vcc, v10, v24
	v_addc_co_u32_e32 v5, vcc, v11, v25, vcc
	s_waitcnt lgkmcnt(1)
	v_add_co_u32_e32 v6, vcc, v12, v30
	v_addc_co_u32_e32 v7, vcc, v13, v31, vcc
	ds_write_b128 v1, v[4:7] offset:16
	ds_read_b128 v[4:7], v1 offset:128
	v_add_co_u32_e32 v8, vcc, v14, v32
	v_addc_co_u32_e32 v9, vcc, v15, v33, vcc
	ds_read_b128 v[12:15], v1 offset:144
	s_waitcnt lgkmcnt(1)
	v_add_co_u32_e32 v10, vcc, v16, v4
	v_addc_co_u32_e32 v11, vcc, v17, v5, vcc
	v_add_co_u32_e32 v4, vcc, v18, v6
	v_addc_co_u32_e32 v5, vcc, v19, v7, vcc
	s_waitcnt lgkmcnt(0)
	v_add_co_u32_e32 v6, vcc, v20, v12
	v_addc_co_u32_e32 v7, vcc, v21, v13, vcc
	ds_write_b128 v1, v[4:7] offset:48
	ds_read_b128 v[4:7], v1 offset:160
	ds_write_b128 v1, v[8:11] offset:32
	v_add_co_u32_e32 v8, vcc, v26, v14
	v_addc_co_u32_e32 v9, vcc, v27, v15, vcc
	s_waitcnt lgkmcnt(1)
	v_add_co_u32_e32 v10, vcc, v28, v4
	v_addc_co_u32_e32 v11, vcc, v29, v5, vcc
	v_add_co_u32_e32 v2, vcc, v2, v6
	v_addc_co_u32_e32 v3, vcc, v3, v7, vcc
	ds_write_b128 v1, v[8:11] offset:64
	ds_write_b64 v1, v[2:3] offset:80
.LBB44_37:
	s_or_b64 exec, exec, s[2:3]
	v_cmp_gt_u32_e32 vcc, 11, v0
	s_waitcnt lgkmcnt(0)
	s_barrier
	s_and_saveexec_b64 s[2:3], vcc
	s_cbranch_execz .LBB44_39
; %bb.38:
	v_mad_u64_u32 v[2:3], s[2:3], s6, 11, v[0:1]
	v_lshlrev_b32_e32 v0, 3, v0
	ds_read_b64 v[0:1], v0
	v_mov_b32_e32 v3, 0
	v_lshlrev_b64 v[2:3], 3, v[2:3]
	v_mov_b32_e32 v4, s1
	v_add_co_u32_e32 v2, vcc, s0, v2
	v_addc_co_u32_e32 v3, vcc, v4, v3, vcc
	s_waitcnt lgkmcnt(0)
	global_store_dwordx2 v[2:3], v[0:1], off
.LBB44_39:
	s_endpgm
	.section	.rodata,"a",@progbits
	.p2align	6, 0x0
	.amdhsa_kernel _ZN9rocsparseL26csrgemm_group_reduce_part1ILj256ELj11EllEEvT2_PT1_PS1_j
		.amdhsa_group_segment_fixed_size 22528
		.amdhsa_private_segment_fixed_size 0
		.amdhsa_kernarg_size 288
		.amdhsa_user_sgpr_count 6
		.amdhsa_user_sgpr_private_segment_buffer 1
		.amdhsa_user_sgpr_dispatch_ptr 0
		.amdhsa_user_sgpr_queue_ptr 0
		.amdhsa_user_sgpr_kernarg_segment_ptr 1
		.amdhsa_user_sgpr_dispatch_id 0
		.amdhsa_user_sgpr_flat_scratch_init 0
		.amdhsa_user_sgpr_kernarg_preload_length 0
		.amdhsa_user_sgpr_kernarg_preload_offset 0
		.amdhsa_user_sgpr_private_segment_size 0
		.amdhsa_uses_dynamic_stack 0
		.amdhsa_system_sgpr_private_segment_wavefront_offset 0
		.amdhsa_system_sgpr_workgroup_id_x 1
		.amdhsa_system_sgpr_workgroup_id_y 0
		.amdhsa_system_sgpr_workgroup_id_z 0
		.amdhsa_system_sgpr_workgroup_info 0
		.amdhsa_system_vgpr_workitem_id 0
		.amdhsa_next_free_vgpr 34
		.amdhsa_next_free_sgpr 58
		.amdhsa_accum_offset 36
		.amdhsa_reserve_vcc 1
		.amdhsa_reserve_flat_scratch 0
		.amdhsa_float_round_mode_32 0
		.amdhsa_float_round_mode_16_64 0
		.amdhsa_float_denorm_mode_32 3
		.amdhsa_float_denorm_mode_16_64 3
		.amdhsa_dx10_clamp 1
		.amdhsa_ieee_mode 1
		.amdhsa_fp16_overflow 0
		.amdhsa_tg_split 0
		.amdhsa_exception_fp_ieee_invalid_op 0
		.amdhsa_exception_fp_denorm_src 0
		.amdhsa_exception_fp_ieee_div_zero 0
		.amdhsa_exception_fp_ieee_overflow 0
		.amdhsa_exception_fp_ieee_underflow 0
		.amdhsa_exception_fp_ieee_inexact 0
		.amdhsa_exception_int_div_zero 0
	.end_amdhsa_kernel
	.section	.text._ZN9rocsparseL26csrgemm_group_reduce_part1ILj256ELj11EllEEvT2_PT1_PS1_j,"axG",@progbits,_ZN9rocsparseL26csrgemm_group_reduce_part1ILj256ELj11EllEEvT2_PT1_PS1_j,comdat
.Lfunc_end44:
	.size	_ZN9rocsparseL26csrgemm_group_reduce_part1ILj256ELj11EllEEvT2_PT1_PS1_j, .Lfunc_end44-_ZN9rocsparseL26csrgemm_group_reduce_part1ILj256ELj11EllEEvT2_PT1_PS1_j
                                        ; -- End function
	.section	.AMDGPU.csdata,"",@progbits
; Kernel info:
; codeLenInByte = 3160
; NumSgprs: 62
; NumVgprs: 34
; NumAgprs: 0
; TotalNumVgprs: 34
; ScratchSize: 0
; MemoryBound: 0
; FloatMode: 240
; IeeeMode: 1
; LDSByteSize: 22528 bytes/workgroup (compile time only)
; SGPRBlocks: 7
; VGPRBlocks: 4
; NumSGPRsForWavesPerEU: 62
; NumVGPRsForWavesPerEU: 34
; AccumOffset: 36
; Occupancy: 2
; WaveLimiterHint : 0
; COMPUTE_PGM_RSRC2:SCRATCH_EN: 0
; COMPUTE_PGM_RSRC2:USER_SGPR: 6
; COMPUTE_PGM_RSRC2:TRAP_HANDLER: 0
; COMPUTE_PGM_RSRC2:TGID_X_EN: 1
; COMPUTE_PGM_RSRC2:TGID_Y_EN: 0
; COMPUTE_PGM_RSRC2:TGID_Z_EN: 0
; COMPUTE_PGM_RSRC2:TIDIG_COMP_CNT: 0
; COMPUTE_PGM_RSRC3_GFX90A:ACCUM_OFFSET: 8
; COMPUTE_PGM_RSRC3_GFX90A:TG_SPLIT: 0
	.section	.text._ZN9rocsparseL22csrgemm_nnz_wf_per_rowILj128ELj4ELj32ELj79EllEEvT4_PKS1_S3_PKT3_S3_S6_S3_S6_S3_PS4_21rocsparse_index_base_S8_S8_bb,"axG",@progbits,_ZN9rocsparseL22csrgemm_nnz_wf_per_rowILj128ELj4ELj32ELj79EllEEvT4_PKS1_S3_PKT3_S3_S6_S3_S6_S3_PS4_21rocsparse_index_base_S8_S8_bb,comdat
	.globl	_ZN9rocsparseL22csrgemm_nnz_wf_per_rowILj128ELj4ELj32ELj79EllEEvT4_PKS1_S3_PKT3_S3_S6_S3_S6_S3_PS4_21rocsparse_index_base_S8_S8_bb ; -- Begin function _ZN9rocsparseL22csrgemm_nnz_wf_per_rowILj128ELj4ELj32ELj79EllEEvT4_PKS1_S3_PKT3_S3_S6_S3_S6_S3_PS4_21rocsparse_index_base_S8_S8_bb
	.p2align	8
	.type	_ZN9rocsparseL22csrgemm_nnz_wf_per_rowILj128ELj4ELj32ELj79EllEEvT4_PKS1_S3_PKT3_S3_S6_S3_S6_S3_PS4_21rocsparse_index_base_S8_S8_bb,@function
_ZN9rocsparseL22csrgemm_nnz_wf_per_rowILj128ELj4ELj32ELj79EllEEvT4_PKS1_S3_PKT3_S3_S6_S3_S6_S3_PS4_21rocsparse_index_base_S8_S8_bb: ; @_ZN9rocsparseL22csrgemm_nnz_wf_per_rowILj128ELj4ELj32ELj79EllEEvT4_PKS1_S3_PKT3_S3_S6_S3_S6_S3_PS4_21rocsparse_index_base_S8_S8_bb
; %bb.0:
	s_load_dwordx2 s[24:25], s[4:5], 0x48
	s_load_dwordx8 s[16:23], s[4:5], 0x8
	s_load_dwordx8 s[8:15], s[4:5], 0x28
	v_and_b32_e32 v15, 3, v0
	v_lshrrev_b32_e32 v2, 2, v0
	v_lshlrev_b32_e32 v0, 3, v15
	v_lshl_or_b32 v4, v2, 8, v0
	v_mov_b32_e32 v0, -1
	v_or_b32_e32 v3, -4, v15
	s_mov_b64 s[0:1], 0
	v_mov_b32_e32 v1, v0
.LBB45_1:                               ; =>This Inner Loop Header: Depth=1
	v_add_u32_e32 v3, 4, v3
	v_cmp_lt_u32_e32 vcc, 27, v3
	ds_write_b64 v4, v[0:1]
	s_or_b64 s[0:1], vcc, s[0:1]
	v_add_u32_e32 v4, 32, v4
	s_andn2_b64 exec, exec, s[0:1]
	s_cbranch_execnz .LBB45_1
; %bb.2:
	s_or_b64 exec, exec, s[0:1]
	s_load_dwordx2 s[0:1], s[4:5], 0x0
	s_lshl_b32 s2, s6, 5
	s_and_b32 s2, s2, 0x3fffffe0
	v_or_b32_e32 v0, s2, v2
	v_mov_b32_e32 v1, 0
	s_waitcnt lgkmcnt(0)
	v_cmp_gt_i64_e32 vcc, s[0:1], v[0:1]
	s_and_saveexec_b64 s[0:1], vcc
	s_cbranch_execz .LBB45_39
; %bb.3:
	s_cmp_eq_u64 s[18:19], 0
	s_cbranch_scc1 .LBB45_5
; %bb.4:
	s_load_dwordx2 s[0:1], s[16:17], 0x0
	v_lshlrev_b64 v[0:1], 3, v[0:1]
	s_waitcnt lgkmcnt(0)
	s_lshl_b64 s[0:1], s[0:1], 3
	s_add_u32 s0, s18, s0
	s_addc_u32 s1, s19, s1
	v_mov_b32_e32 v3, s1
	v_add_co_u32_e32 v0, vcc, s0, v0
	v_addc_co_u32_e32 v1, vcc, v3, v1, vcc
	global_load_dwordx2 v[0:1], v[0:1], off
.LBB45_5:
	s_load_dwordx4 s[0:3], s[4:5], 0x50
	v_lshlrev_b32_e32 v18, 8, v2
	s_mov_b32 s18, 0
	v_pk_mov_b32 v[6:7], 0, 0
	s_waitcnt vmcnt(0)
	v_lshlrev_b64 v[4:5], 3, v[0:1]
	s_waitcnt lgkmcnt(0)
	s_bitcmp0_b32 s3, 0
	s_cbranch_scc1 .LBB45_23
; %bb.6:
	v_mov_b32_e32 v1, s21
	v_add_co_u32_e32 v0, vcc, s20, v4
	v_addc_co_u32_e32 v1, vcc, v1, v5, vcc
	global_load_dwordx4 v[0:3], v[0:1], off
	v_subrev_co_u32_e32 v6, vcc, s0, v15
	v_subb_co_u32_e64 v7, s[6:7], 0, 0, vcc
	s_waitcnt vmcnt(0)
	v_subrev_co_u32_e32 v8, vcc, s0, v2
	v_subbrev_co_u32_e32 v9, vcc, 0, v3, vcc
	v_add_co_u32_e32 v10, vcc, v6, v0
	v_addc_co_u32_e32 v11, vcc, v7, v1, vcc
	v_cmp_lt_i64_e32 vcc, v[10:11], v[8:9]
	v_pk_mov_b32 v[6:7], 0, 0
	s_and_saveexec_b64 s[6:7], vcc
	s_cbranch_execz .LBB45_22
; %bb.7:
	s_mov_b32 s3, s0
	s_mov_b32 s33, 0
	;; [unrolled: 1-line block ×3, first 2 shown]
	s_mov_b64 s[16:17], 0
	v_pk_mov_b32 v[6:7], 0, 0
	v_mov_b32_e32 v19, s23
	v_mov_b32_e32 v20, s18
	;; [unrolled: 1-line block ×3, first 2 shown]
	s_branch .LBB45_10
.LBB45_8:                               ;   in Loop: Header=BB45_10 Depth=1
	s_or_b64 exec, exec, s[20:21]
.LBB45_9:                               ;   in Loop: Header=BB45_10 Depth=1
	s_or_b64 exec, exec, s[18:19]
	v_add_co_u32_e32 v10, vcc, 4, v10
	v_addc_co_u32_e32 v11, vcc, 0, v11, vcc
	v_cmp_ge_i64_e32 vcc, v[10:11], v[8:9]
	s_or_b64 s[16:17], vcc, s[16:17]
	s_andn2_b64 exec, exec, s[16:17]
	s_cbranch_execz .LBB45_21
.LBB45_10:                              ; =>This Loop Header: Depth=1
                                        ;     Child Loop BB45_13 Depth 2
                                        ;       Child Loop BB45_16 Depth 3
	v_lshlrev_b64 v[0:1], 3, v[10:11]
	v_add_co_u32_e32 v0, vcc, s22, v0
	v_addc_co_u32_e32 v1, vcc, v19, v1, vcc
	global_load_dwordx2 v[0:1], v[0:1], off
	s_waitcnt vmcnt(0)
	v_subrev_co_u32_e32 v0, vcc, s3, v0
	v_subb_co_u32_e32 v1, vcc, v1, v20, vcc
	v_lshlrev_b64 v[0:1], 3, v[0:1]
	v_add_co_u32_e32 v0, vcc, s8, v0
	v_addc_co_u32_e32 v1, vcc, v21, v1, vcc
	global_load_dwordx4 v[0:3], v[0:1], off
	s_waitcnt vmcnt(0)
	v_cmp_lt_i64_e32 vcc, v[0:1], v[2:3]
	s_and_saveexec_b64 s[18:19], vcc
	s_cbranch_execz .LBB45_9
; %bb.11:                               ;   in Loop: Header=BB45_10 Depth=1
	v_mov_b32_e32 v12, s33
	v_subrev_co_u32_e32 v2, vcc, s44, v2
	v_subb_co_u32_e32 v3, vcc, v3, v12, vcc
	v_subrev_co_u32_e32 v0, vcc, s44, v0
	v_subb_co_u32_e32 v1, vcc, v1, v12, vcc
	s_mov_b64 s[20:21], 0
	s_branch .LBB45_13
.LBB45_12:                              ;   in Loop: Header=BB45_13 Depth=2
	s_or_b64 exec, exec, s[34:35]
	v_add_co_u32_e32 v0, vcc, 1, v0
	v_addc_co_u32_e32 v1, vcc, 0, v1, vcc
	v_cndmask_b32_e64 v12, 0, 1, s[26:27]
	v_cmp_ge_i64_e32 vcc, v[0:1], v[2:3]
	s_or_b64 s[20:21], vcc, s[20:21]
	v_add_co_u32_e32 v6, vcc, v6, v12
	v_addc_co_u32_e32 v7, vcc, 0, v7, vcc
	s_andn2_b64 exec, exec, s[20:21]
	s_cbranch_execz .LBB45_8
.LBB45_13:                              ;   Parent Loop BB45_10 Depth=1
                                        ; =>  This Loop Header: Depth=2
                                        ;       Child Loop BB45_16 Depth 3
	v_lshlrev_b64 v[12:13], 3, v[0:1]
	v_mov_b32_e32 v14, s11
	v_add_co_u32_e32 v12, vcc, s10, v12
	v_addc_co_u32_e32 v13, vcc, v14, v13, vcc
	global_load_dwordx2 v[12:13], v[12:13], off
	v_mov_b32_e32 v14, s33
	s_mov_b64 s[34:35], 0
                                        ; implicit-def: $sgpr26_sgpr27
                                        ; implicit-def: $sgpr28_sgpr29
                                        ; implicit-def: $sgpr30_sgpr31
                                        ; implicit-def: $sgpr36_sgpr37
	s_waitcnt vmcnt(0)
	v_subrev_co_u32_e32 v12, vcc, s44, v12
	v_subb_co_u32_e32 v13, vcc, v13, v14, vcc
	v_mul_lo_u32 v14, v12, 15
	v_and_b32_e32 v14, 31, v14
	s_branch .LBB45_16
.LBB45_14:                              ;   in Loop: Header=BB45_16 Depth=3
	s_or_b64 exec, exec, s[42:43]
	s_andn2_b64 s[30:31], s[30:31], exec
	s_and_b64 s[36:37], s[40:41], exec
	s_andn2_b64 s[28:29], s[28:29], exec
	s_and_b64 s[0:1], s[0:1], exec
	s_or_b64 s[30:31], s[30:31], s[36:37]
	s_or_b64 s[28:29], s[28:29], s[0:1]
                                        ; implicit-def: $sgpr36_sgpr37
.LBB45_15:                              ;   in Loop: Header=BB45_16 Depth=3
	s_or_b64 exec, exec, s[38:39]
	s_xor_b64 s[0:1], s[28:29], -1
	s_and_b64 s[0:1], exec, s[0:1]
	s_or_b64 s[34:35], s[0:1], s[34:35]
	s_andn2_b64 s[0:1], s[36:37], exec
	s_and_b64 s[38:39], s[30:31], exec
	s_or_b64 s[36:37], s[0:1], s[38:39]
	s_andn2_b64 s[0:1], s[26:27], exec
	s_or_b64 s[26:27], s[0:1], s[38:39]
	s_andn2_b64 exec, exec, s[34:35]
	s_cbranch_execz .LBB45_12
.LBB45_16:                              ;   Parent Loop BB45_10 Depth=1
                                        ;     Parent Loop BB45_13 Depth=2
                                        ; =>    This Inner Loop Header: Depth=3
	v_lshl_add_u32 v22, v14, 3, v18
	ds_read_b64 v[16:17], v22
	s_andn2_b64 s[30:31], s[30:31], exec
	s_andn2_b64 s[28:29], s[28:29], exec
	s_waitcnt lgkmcnt(0)
	v_cmp_ne_u64_e32 vcc, v[16:17], v[12:13]
	s_and_saveexec_b64 s[38:39], vcc
	s_cbranch_execz .LBB45_15
; %bb.17:                               ;   in Loop: Header=BB45_16 Depth=3
	v_cmp_ne_u64_e32 vcc, -1, v[16:17]
                                        ; implicit-def: $sgpr40_sgpr41
                                        ; implicit-def: $sgpr0_sgpr1
	s_and_saveexec_b64 s[42:43], vcc
	s_xor_b64 s[42:43], exec, s[42:43]
; %bb.18:                               ;   in Loop: Header=BB45_16 Depth=3
	v_add_u32_e32 v14, 1, v14
	v_and_b32_e32 v14, 31, v14
	s_mov_b64 s[0:1], -1
	s_and_b64 s[40:41], s[36:37], exec
                                        ; implicit-def: $vgpr22
; %bb.19:                               ;   in Loop: Header=BB45_16 Depth=3
	s_andn2_saveexec_b64 s[42:43], s[42:43]
	s_cbranch_execz .LBB45_14
; %bb.20:                               ;   in Loop: Header=BB45_16 Depth=3
	v_pk_mov_b32 v[16:17], -1, -1
	ds_cmpst_rtn_b64 v[16:17], v22, v[16:17], v[12:13]
	s_andn2_b64 s[46:47], s[0:1], exec
	s_andn2_b64 s[40:41], s[40:41], exec
	s_waitcnt lgkmcnt(0)
	v_cmp_eq_u64_e64 s[0:1], -1, v[16:17]
	v_cmp_ne_u64_e32 vcc, -1, v[16:17]
	s_or_b64 s[36:37], s[0:1], s[36:37]
	s_and_b64 s[0:1], vcc, exec
	s_and_b64 s[36:37], s[36:37], exec
	s_or_b64 s[0:1], s[46:47], s[0:1]
	s_or_b64 s[40:41], s[40:41], s[36:37]
	s_branch .LBB45_14
.LBB45_21:
	s_or_b64 exec, exec, s[16:17]
.LBB45_22:
	s_or_b64 exec, exec, s[6:7]
.LBB45_23:
	s_load_dword s0, s[4:5], 0x5c
	s_waitcnt lgkmcnt(0)
	s_bfe_u32 s0, s0, 0x10008
	s_cmp_eq_u32 s0, 0
	s_cbranch_scc1 .LBB45_37
; %bb.24:
	v_mov_b32_e32 v1, s13
	v_add_co_u32_e32 v0, vcc, s12, v4
	v_addc_co_u32_e32 v1, vcc, v1, v5, vcc
	global_load_dwordx4 v[8:11], v[0:1], off
	v_subrev_co_u32_e32 v2, vcc, s2, v15
	v_subb_co_u32_e64 v3, s[4:5], 0, 0, vcc
	s_mov_b32 s0, 0
	s_waitcnt vmcnt(0)
	v_subrev_co_u32_e32 v0, vcc, s2, v10
	v_subbrev_co_u32_e32 v1, vcc, 0, v11, vcc
	v_add_co_u32_e32 v2, vcc, v2, v8
	v_addc_co_u32_e32 v3, vcc, v3, v9, vcc
	v_cmp_lt_i64_e32 vcc, v[2:3], v[0:1]
	s_and_saveexec_b64 s[4:5], vcc
	s_cbranch_execz .LBB45_36
; %bb.25:
	s_mov_b64 s[6:7], 0
	v_mov_b32_e32 v11, s15
	v_mov_b32_e32 v14, s0
	s_branch .LBB45_27
.LBB45_26:                              ;   in Loop: Header=BB45_27 Depth=1
	s_or_b64 exec, exec, s[16:17]
	v_add_co_u32_e32 v2, vcc, 4, v2
	v_addc_co_u32_e32 v3, vcc, 0, v3, vcc
	v_cndmask_b32_e64 v8, 0, 1, s[8:9]
	v_cmp_ge_i64_e32 vcc, v[2:3], v[0:1]
	s_or_b64 s[6:7], vcc, s[6:7]
	v_add_co_u32_e32 v6, vcc, v6, v8
	v_addc_co_u32_e32 v7, vcc, 0, v7, vcc
	s_andn2_b64 exec, exec, s[6:7]
	s_cbranch_execz .LBB45_35
.LBB45_27:                              ; =>This Loop Header: Depth=1
                                        ;     Child Loop BB45_30 Depth 2
	v_lshlrev_b64 v[8:9], 3, v[2:3]
	v_add_co_u32_e32 v8, vcc, s14, v8
	v_addc_co_u32_e32 v9, vcc, v11, v9, vcc
	global_load_dwordx2 v[8:9], v[8:9], off
	s_mov_b64 s[16:17], 0
                                        ; implicit-def: $sgpr8_sgpr9
                                        ; implicit-def: $sgpr10_sgpr11
                                        ; implicit-def: $sgpr12_sgpr13
                                        ; implicit-def: $sgpr18_sgpr19
	s_waitcnt vmcnt(0)
	v_subrev_co_u32_e32 v8, vcc, s2, v8
	v_mul_lo_u32 v10, v8, 15
	v_subb_co_u32_e32 v9, vcc, v9, v14, vcc
	v_and_b32_e32 v10, 31, v10
	s_branch .LBB45_30
.LBB45_28:                              ;   in Loop: Header=BB45_30 Depth=2
	s_or_b64 exec, exec, s[26:27]
	s_andn2_b64 s[12:13], s[12:13], exec
	s_and_b64 s[18:19], s[22:23], exec
	s_andn2_b64 s[10:11], s[10:11], exec
	s_and_b64 s[0:1], s[0:1], exec
	s_or_b64 s[12:13], s[12:13], s[18:19]
	s_or_b64 s[10:11], s[10:11], s[0:1]
                                        ; implicit-def: $sgpr18_sgpr19
.LBB45_29:                              ;   in Loop: Header=BB45_30 Depth=2
	s_or_b64 exec, exec, s[20:21]
	s_xor_b64 s[0:1], s[10:11], -1
	s_and_b64 s[0:1], exec, s[0:1]
	s_or_b64 s[16:17], s[0:1], s[16:17]
	s_andn2_b64 s[0:1], s[18:19], exec
	s_and_b64 s[20:21], s[12:13], exec
	s_or_b64 s[18:19], s[0:1], s[20:21]
	s_andn2_b64 s[0:1], s[8:9], exec
	s_or_b64 s[8:9], s[0:1], s[20:21]
	s_andn2_b64 exec, exec, s[16:17]
	s_cbranch_execz .LBB45_26
.LBB45_30:                              ;   Parent Loop BB45_27 Depth=1
                                        ; =>  This Inner Loop Header: Depth=2
	v_lshl_add_u32 v16, v10, 3, v18
	ds_read_b64 v[12:13], v16
	s_andn2_b64 s[12:13], s[12:13], exec
	s_andn2_b64 s[10:11], s[10:11], exec
	s_waitcnt lgkmcnt(0)
	v_cmp_ne_u64_e32 vcc, v[12:13], v[8:9]
	s_and_saveexec_b64 s[20:21], vcc
	s_cbranch_execz .LBB45_29
; %bb.31:                               ;   in Loop: Header=BB45_30 Depth=2
	v_cmp_ne_u64_e32 vcc, -1, v[12:13]
                                        ; implicit-def: $sgpr22_sgpr23
                                        ; implicit-def: $sgpr0_sgpr1
	s_and_saveexec_b64 s[26:27], vcc
	s_xor_b64 s[26:27], exec, s[26:27]
; %bb.32:                               ;   in Loop: Header=BB45_30 Depth=2
	v_add_u32_e32 v10, 1, v10
	v_and_b32_e32 v10, 31, v10
	s_mov_b64 s[0:1], -1
	s_and_b64 s[22:23], s[18:19], exec
                                        ; implicit-def: $vgpr16
; %bb.33:                               ;   in Loop: Header=BB45_30 Depth=2
	s_andn2_saveexec_b64 s[26:27], s[26:27]
	s_cbranch_execz .LBB45_28
; %bb.34:                               ;   in Loop: Header=BB45_30 Depth=2
	v_pk_mov_b32 v[12:13], -1, -1
	ds_cmpst_rtn_b64 v[12:13], v16, v[12:13], v[8:9]
	s_andn2_b64 s[28:29], s[0:1], exec
	s_andn2_b64 s[22:23], s[22:23], exec
	s_waitcnt lgkmcnt(0)
	v_cmp_eq_u64_e64 s[0:1], -1, v[12:13]
	v_cmp_ne_u64_e32 vcc, -1, v[12:13]
	s_or_b64 s[18:19], s[0:1], s[18:19]
	s_and_b64 s[0:1], vcc, exec
	s_and_b64 s[18:19], s[18:19], exec
	s_or_b64 s[0:1], s[28:29], s[0:1]
	s_or_b64 s[22:23], s[22:23], s[18:19]
	s_branch .LBB45_28
.LBB45_35:
	s_or_b64 exec, exec, s[6:7]
.LBB45_36:
	s_or_b64 exec, exec, s[4:5]
.LBB45_37:
	v_mov_b32_dpp v0, v6 row_shr:1 row_mask:0xf bank_mask:0xf
	v_add_co_u32_e32 v0, vcc, v6, v0
	v_addc_co_u32_e32 v3, vcc, 0, v7, vcc
	v_mov_b32_dpp v2, v7 row_shr:1 row_mask:0xf bank_mask:0xf
	v_add_co_u32_e32 v1, vcc, 0, v0
	v_addc_co_u32_e32 v2, vcc, v2, v3, vcc
	v_mov_b32_dpp v3, v0 row_shr:2 row_mask:0xf bank_mask:0xf
	s_nop 0
	v_mov_b32_dpp v0, v2 row_shr:2 row_mask:0xf bank_mask:0xf
	v_cmp_eq_u32_e32 vcc, 3, v15
	s_and_b64 exec, exec, vcc
	s_cbranch_execz .LBB45_39
; %bb.38:
	v_mov_b32_e32 v6, s25
	v_add_co_u32_e32 v4, vcc, s24, v4
	v_addc_co_u32_e32 v5, vcc, v6, v5, vcc
	v_add_co_u32_e32 v1, vcc, v1, v3
	v_addc_co_u32_e32 v3, vcc, 0, v2, vcc
	;; [unrolled: 2-line block ×3, first 2 shown]
	global_store_dwordx2 v[4:5], v[2:3], off
.LBB45_39:
	s_endpgm
	.section	.rodata,"a",@progbits
	.p2align	6, 0x0
	.amdhsa_kernel _ZN9rocsparseL22csrgemm_nnz_wf_per_rowILj128ELj4ELj32ELj79EllEEvT4_PKS1_S3_PKT3_S3_S6_S3_S6_S3_PS4_21rocsparse_index_base_S8_S8_bb
		.amdhsa_group_segment_fixed_size 8192
		.amdhsa_private_segment_fixed_size 0
		.amdhsa_kernarg_size 96
		.amdhsa_user_sgpr_count 6
		.amdhsa_user_sgpr_private_segment_buffer 1
		.amdhsa_user_sgpr_dispatch_ptr 0
		.amdhsa_user_sgpr_queue_ptr 0
		.amdhsa_user_sgpr_kernarg_segment_ptr 1
		.amdhsa_user_sgpr_dispatch_id 0
		.amdhsa_user_sgpr_flat_scratch_init 0
		.amdhsa_user_sgpr_kernarg_preload_length 0
		.amdhsa_user_sgpr_kernarg_preload_offset 0
		.amdhsa_user_sgpr_private_segment_size 0
		.amdhsa_uses_dynamic_stack 0
		.amdhsa_system_sgpr_private_segment_wavefront_offset 0
		.amdhsa_system_sgpr_workgroup_id_x 1
		.amdhsa_system_sgpr_workgroup_id_y 0
		.amdhsa_system_sgpr_workgroup_id_z 0
		.amdhsa_system_sgpr_workgroup_info 0
		.amdhsa_system_vgpr_workitem_id 0
		.amdhsa_next_free_vgpr 23
		.amdhsa_next_free_sgpr 48
		.amdhsa_accum_offset 24
		.amdhsa_reserve_vcc 1
		.amdhsa_reserve_flat_scratch 0
		.amdhsa_float_round_mode_32 0
		.amdhsa_float_round_mode_16_64 0
		.amdhsa_float_denorm_mode_32 3
		.amdhsa_float_denorm_mode_16_64 3
		.amdhsa_dx10_clamp 1
		.amdhsa_ieee_mode 1
		.amdhsa_fp16_overflow 0
		.amdhsa_tg_split 0
		.amdhsa_exception_fp_ieee_invalid_op 0
		.amdhsa_exception_fp_denorm_src 0
		.amdhsa_exception_fp_ieee_div_zero 0
		.amdhsa_exception_fp_ieee_overflow 0
		.amdhsa_exception_fp_ieee_underflow 0
		.amdhsa_exception_fp_ieee_inexact 0
		.amdhsa_exception_int_div_zero 0
	.end_amdhsa_kernel
	.section	.text._ZN9rocsparseL22csrgemm_nnz_wf_per_rowILj128ELj4ELj32ELj79EllEEvT4_PKS1_S3_PKT3_S3_S6_S3_S6_S3_PS4_21rocsparse_index_base_S8_S8_bb,"axG",@progbits,_ZN9rocsparseL22csrgemm_nnz_wf_per_rowILj128ELj4ELj32ELj79EllEEvT4_PKS1_S3_PKT3_S3_S6_S3_S6_S3_PS4_21rocsparse_index_base_S8_S8_bb,comdat
.Lfunc_end45:
	.size	_ZN9rocsparseL22csrgemm_nnz_wf_per_rowILj128ELj4ELj32ELj79EllEEvT4_PKS1_S3_PKT3_S3_S6_S3_S6_S3_PS4_21rocsparse_index_base_S8_S8_bb, .Lfunc_end45-_ZN9rocsparseL22csrgemm_nnz_wf_per_rowILj128ELj4ELj32ELj79EllEEvT4_PKS1_S3_PKT3_S3_S6_S3_S6_S3_PS4_21rocsparse_index_base_S8_S8_bb
                                        ; -- End function
	.section	.AMDGPU.csdata,"",@progbits
; Kernel info:
; codeLenInByte = 1360
; NumSgprs: 52
; NumVgprs: 23
; NumAgprs: 0
; TotalNumVgprs: 23
; ScratchSize: 0
; MemoryBound: 0
; FloatMode: 240
; IeeeMode: 1
; LDSByteSize: 8192 bytes/workgroup (compile time only)
; SGPRBlocks: 6
; VGPRBlocks: 2
; NumSGPRsForWavesPerEU: 52
; NumVGPRsForWavesPerEU: 23
; AccumOffset: 24
; Occupancy: 4
; WaveLimiterHint : 1
; COMPUTE_PGM_RSRC2:SCRATCH_EN: 0
; COMPUTE_PGM_RSRC2:USER_SGPR: 6
; COMPUTE_PGM_RSRC2:TRAP_HANDLER: 0
; COMPUTE_PGM_RSRC2:TGID_X_EN: 1
; COMPUTE_PGM_RSRC2:TGID_Y_EN: 0
; COMPUTE_PGM_RSRC2:TGID_Z_EN: 0
; COMPUTE_PGM_RSRC2:TIDIG_COMP_CNT: 0
; COMPUTE_PGM_RSRC3_GFX90A:ACCUM_OFFSET: 5
; COMPUTE_PGM_RSRC3_GFX90A:TG_SPLIT: 0
	.section	.text._ZN9rocsparseL22csrgemm_nnz_wf_per_rowILj256ELj8ELj64ELj79EllEEvT4_PKS1_S3_PKT3_S3_S6_S3_S6_S3_PS4_21rocsparse_index_base_S8_S8_bb,"axG",@progbits,_ZN9rocsparseL22csrgemm_nnz_wf_per_rowILj256ELj8ELj64ELj79EllEEvT4_PKS1_S3_PKT3_S3_S6_S3_S6_S3_PS4_21rocsparse_index_base_S8_S8_bb,comdat
	.globl	_ZN9rocsparseL22csrgemm_nnz_wf_per_rowILj256ELj8ELj64ELj79EllEEvT4_PKS1_S3_PKT3_S3_S6_S3_S6_S3_PS4_21rocsparse_index_base_S8_S8_bb ; -- Begin function _ZN9rocsparseL22csrgemm_nnz_wf_per_rowILj256ELj8ELj64ELj79EllEEvT4_PKS1_S3_PKT3_S3_S6_S3_S6_S3_PS4_21rocsparse_index_base_S8_S8_bb
	.p2align	8
	.type	_ZN9rocsparseL22csrgemm_nnz_wf_per_rowILj256ELj8ELj64ELj79EllEEvT4_PKS1_S3_PKT3_S3_S6_S3_S6_S3_PS4_21rocsparse_index_base_S8_S8_bb,@function
_ZN9rocsparseL22csrgemm_nnz_wf_per_rowILj256ELj8ELj64ELj79EllEEvT4_PKS1_S3_PKT3_S3_S6_S3_S6_S3_PS4_21rocsparse_index_base_S8_S8_bb: ; @_ZN9rocsparseL22csrgemm_nnz_wf_per_rowILj256ELj8ELj64ELj79EllEEvT4_PKS1_S3_PKT3_S3_S6_S3_S6_S3_PS4_21rocsparse_index_base_S8_S8_bb
; %bb.0:
	s_load_dwordx2 s[24:25], s[4:5], 0x48
	s_load_dwordx8 s[16:23], s[4:5], 0x8
	s_load_dwordx8 s[8:15], s[4:5], 0x28
	v_and_b32_e32 v15, 7, v0
	v_lshrrev_b32_e32 v2, 3, v0
	v_lshlrev_b32_e32 v0, 3, v15
	v_lshl_or_b32 v4, v2, 9, v0
	v_mov_b32_e32 v0, -1
	v_or_b32_e32 v3, -8, v15
	s_mov_b64 s[0:1], 0
	v_mov_b32_e32 v1, v0
.LBB46_1:                               ; =>This Inner Loop Header: Depth=1
	v_add_u32_e32 v3, 8, v3
	v_cmp_lt_u32_e32 vcc, 55, v3
	ds_write_b64 v4, v[0:1]
	s_or_b64 s[0:1], vcc, s[0:1]
	v_add_u32_e32 v4, 64, v4
	s_andn2_b64 exec, exec, s[0:1]
	s_cbranch_execnz .LBB46_1
; %bb.2:
	s_or_b64 exec, exec, s[0:1]
	s_load_dwordx2 s[0:1], s[4:5], 0x0
	s_lshl_b32 s2, s6, 5
	s_and_b32 s2, s2, 0x1fffffe0
	v_or_b32_e32 v0, s2, v2
	v_mov_b32_e32 v1, 0
	s_waitcnt lgkmcnt(0)
	v_cmp_gt_i64_e32 vcc, s[0:1], v[0:1]
	s_and_saveexec_b64 s[0:1], vcc
	s_cbranch_execz .LBB46_39
; %bb.3:
	s_cmp_eq_u64 s[18:19], 0
	s_cbranch_scc1 .LBB46_5
; %bb.4:
	s_load_dwordx2 s[0:1], s[16:17], 0x0
	v_lshlrev_b32_e32 v0, 3, v0
	s_waitcnt lgkmcnt(0)
	s_lshl_b64 s[0:1], s[0:1], 3
	s_add_u32 s0, s18, s0
	s_addc_u32 s1, s19, s1
	global_load_dwordx2 v[0:1], v0, s[0:1]
.LBB46_5:
	s_load_dwordx4 s[0:3], s[4:5], 0x50
	v_lshlrev_b32_e32 v18, 9, v2
	s_mov_b32 s18, 0
	v_pk_mov_b32 v[6:7], 0, 0
	s_waitcnt vmcnt(0)
	v_lshlrev_b64 v[4:5], 3, v[0:1]
	s_waitcnt lgkmcnt(0)
	s_bitcmp0_b32 s3, 0
	s_cbranch_scc1 .LBB46_23
; %bb.6:
	v_mov_b32_e32 v1, s21
	v_add_co_u32_e32 v0, vcc, s20, v4
	v_addc_co_u32_e32 v1, vcc, v1, v5, vcc
	global_load_dwordx4 v[0:3], v[0:1], off
	v_subrev_co_u32_e32 v6, vcc, s0, v15
	v_subb_co_u32_e64 v7, s[6:7], 0, 0, vcc
	s_waitcnt vmcnt(0)
	v_subrev_co_u32_e32 v8, vcc, s0, v2
	v_subbrev_co_u32_e32 v9, vcc, 0, v3, vcc
	v_add_co_u32_e32 v10, vcc, v6, v0
	v_addc_co_u32_e32 v11, vcc, v7, v1, vcc
	v_cmp_lt_i64_e32 vcc, v[10:11], v[8:9]
	v_pk_mov_b32 v[6:7], 0, 0
	s_and_saveexec_b64 s[6:7], vcc
	s_cbranch_execz .LBB46_22
; %bb.7:
	s_mov_b32 s3, s0
	s_mov_b32 s33, 0
	;; [unrolled: 1-line block ×3, first 2 shown]
	s_mov_b64 s[16:17], 0
	v_pk_mov_b32 v[6:7], 0, 0
	v_mov_b32_e32 v19, s23
	v_mov_b32_e32 v20, s18
	;; [unrolled: 1-line block ×3, first 2 shown]
	s_branch .LBB46_10
.LBB46_8:                               ;   in Loop: Header=BB46_10 Depth=1
	s_or_b64 exec, exec, s[20:21]
.LBB46_9:                               ;   in Loop: Header=BB46_10 Depth=1
	s_or_b64 exec, exec, s[18:19]
	v_add_co_u32_e32 v10, vcc, 8, v10
	v_addc_co_u32_e32 v11, vcc, 0, v11, vcc
	v_cmp_ge_i64_e32 vcc, v[10:11], v[8:9]
	s_or_b64 s[16:17], vcc, s[16:17]
	s_andn2_b64 exec, exec, s[16:17]
	s_cbranch_execz .LBB46_21
.LBB46_10:                              ; =>This Loop Header: Depth=1
                                        ;     Child Loop BB46_13 Depth 2
                                        ;       Child Loop BB46_16 Depth 3
	v_lshlrev_b64 v[0:1], 3, v[10:11]
	v_add_co_u32_e32 v0, vcc, s22, v0
	v_addc_co_u32_e32 v1, vcc, v19, v1, vcc
	global_load_dwordx2 v[0:1], v[0:1], off
	s_waitcnt vmcnt(0)
	v_subrev_co_u32_e32 v0, vcc, s3, v0
	v_subb_co_u32_e32 v1, vcc, v1, v20, vcc
	v_lshlrev_b64 v[0:1], 3, v[0:1]
	v_add_co_u32_e32 v0, vcc, s8, v0
	v_addc_co_u32_e32 v1, vcc, v21, v1, vcc
	global_load_dwordx4 v[0:3], v[0:1], off
	s_waitcnt vmcnt(0)
	v_cmp_lt_i64_e32 vcc, v[0:1], v[2:3]
	s_and_saveexec_b64 s[18:19], vcc
	s_cbranch_execz .LBB46_9
; %bb.11:                               ;   in Loop: Header=BB46_10 Depth=1
	v_mov_b32_e32 v12, s33
	v_subrev_co_u32_e32 v2, vcc, s44, v2
	v_subb_co_u32_e32 v3, vcc, v3, v12, vcc
	v_subrev_co_u32_e32 v0, vcc, s44, v0
	v_subb_co_u32_e32 v1, vcc, v1, v12, vcc
	s_mov_b64 s[20:21], 0
	s_branch .LBB46_13
.LBB46_12:                              ;   in Loop: Header=BB46_13 Depth=2
	s_or_b64 exec, exec, s[34:35]
	v_add_co_u32_e32 v0, vcc, 1, v0
	v_addc_co_u32_e32 v1, vcc, 0, v1, vcc
	v_cndmask_b32_e64 v12, 0, 1, s[26:27]
	v_cmp_ge_i64_e32 vcc, v[0:1], v[2:3]
	s_or_b64 s[20:21], vcc, s[20:21]
	v_add_co_u32_e32 v6, vcc, v6, v12
	v_addc_co_u32_e32 v7, vcc, 0, v7, vcc
	s_andn2_b64 exec, exec, s[20:21]
	s_cbranch_execz .LBB46_8
.LBB46_13:                              ;   Parent Loop BB46_10 Depth=1
                                        ; =>  This Loop Header: Depth=2
                                        ;       Child Loop BB46_16 Depth 3
	v_lshlrev_b64 v[12:13], 3, v[0:1]
	v_mov_b32_e32 v14, s11
	v_add_co_u32_e32 v12, vcc, s10, v12
	v_addc_co_u32_e32 v13, vcc, v14, v13, vcc
	global_load_dwordx2 v[12:13], v[12:13], off
	v_mov_b32_e32 v14, s33
	s_mov_b64 s[34:35], 0
                                        ; implicit-def: $sgpr26_sgpr27
                                        ; implicit-def: $sgpr28_sgpr29
                                        ; implicit-def: $sgpr30_sgpr31
                                        ; implicit-def: $sgpr36_sgpr37
	s_waitcnt vmcnt(0)
	v_subrev_co_u32_e32 v12, vcc, s44, v12
	v_subb_co_u32_e32 v13, vcc, v13, v14, vcc
	v_mul_lo_u32 v14, v12, 15
	v_and_b32_e32 v14, 63, v14
	s_branch .LBB46_16
.LBB46_14:                              ;   in Loop: Header=BB46_16 Depth=3
	s_or_b64 exec, exec, s[42:43]
	s_andn2_b64 s[30:31], s[30:31], exec
	s_and_b64 s[36:37], s[40:41], exec
	s_andn2_b64 s[28:29], s[28:29], exec
	s_and_b64 s[0:1], s[0:1], exec
	s_or_b64 s[30:31], s[30:31], s[36:37]
	s_or_b64 s[28:29], s[28:29], s[0:1]
                                        ; implicit-def: $sgpr36_sgpr37
.LBB46_15:                              ;   in Loop: Header=BB46_16 Depth=3
	s_or_b64 exec, exec, s[38:39]
	s_xor_b64 s[0:1], s[28:29], -1
	s_and_b64 s[0:1], exec, s[0:1]
	s_or_b64 s[34:35], s[0:1], s[34:35]
	s_andn2_b64 s[0:1], s[36:37], exec
	s_and_b64 s[38:39], s[30:31], exec
	s_or_b64 s[36:37], s[0:1], s[38:39]
	s_andn2_b64 s[0:1], s[26:27], exec
	s_or_b64 s[26:27], s[0:1], s[38:39]
	s_andn2_b64 exec, exec, s[34:35]
	s_cbranch_execz .LBB46_12
.LBB46_16:                              ;   Parent Loop BB46_10 Depth=1
                                        ;     Parent Loop BB46_13 Depth=2
                                        ; =>    This Inner Loop Header: Depth=3
	v_lshl_add_u32 v22, v14, 3, v18
	ds_read_b64 v[16:17], v22
	s_andn2_b64 s[30:31], s[30:31], exec
	s_andn2_b64 s[28:29], s[28:29], exec
	s_waitcnt lgkmcnt(0)
	v_cmp_ne_u64_e32 vcc, v[16:17], v[12:13]
	s_and_saveexec_b64 s[38:39], vcc
	s_cbranch_execz .LBB46_15
; %bb.17:                               ;   in Loop: Header=BB46_16 Depth=3
	v_cmp_ne_u64_e32 vcc, -1, v[16:17]
                                        ; implicit-def: $sgpr40_sgpr41
                                        ; implicit-def: $sgpr0_sgpr1
	s_and_saveexec_b64 s[42:43], vcc
	s_xor_b64 s[42:43], exec, s[42:43]
; %bb.18:                               ;   in Loop: Header=BB46_16 Depth=3
	v_add_u32_e32 v14, 1, v14
	v_and_b32_e32 v14, 63, v14
	s_mov_b64 s[0:1], -1
	s_and_b64 s[40:41], s[36:37], exec
                                        ; implicit-def: $vgpr22
; %bb.19:                               ;   in Loop: Header=BB46_16 Depth=3
	s_andn2_saveexec_b64 s[42:43], s[42:43]
	s_cbranch_execz .LBB46_14
; %bb.20:                               ;   in Loop: Header=BB46_16 Depth=3
	v_pk_mov_b32 v[16:17], -1, -1
	ds_cmpst_rtn_b64 v[16:17], v22, v[16:17], v[12:13]
	s_andn2_b64 s[46:47], s[0:1], exec
	s_andn2_b64 s[40:41], s[40:41], exec
	s_waitcnt lgkmcnt(0)
	v_cmp_eq_u64_e64 s[0:1], -1, v[16:17]
	v_cmp_ne_u64_e32 vcc, -1, v[16:17]
	s_or_b64 s[36:37], s[0:1], s[36:37]
	s_and_b64 s[0:1], vcc, exec
	s_and_b64 s[36:37], s[36:37], exec
	s_or_b64 s[0:1], s[46:47], s[0:1]
	s_or_b64 s[40:41], s[40:41], s[36:37]
	s_branch .LBB46_14
.LBB46_21:
	s_or_b64 exec, exec, s[16:17]
.LBB46_22:
	s_or_b64 exec, exec, s[6:7]
.LBB46_23:
	s_load_dword s0, s[4:5], 0x5c
	s_waitcnt lgkmcnt(0)
	s_bfe_u32 s0, s0, 0x10008
	s_cmp_eq_u32 s0, 0
	s_cbranch_scc1 .LBB46_37
; %bb.24:
	v_mov_b32_e32 v1, s13
	v_add_co_u32_e32 v0, vcc, s12, v4
	v_addc_co_u32_e32 v1, vcc, v1, v5, vcc
	global_load_dwordx4 v[8:11], v[0:1], off
	v_subrev_co_u32_e32 v2, vcc, s2, v15
	v_subb_co_u32_e64 v3, s[4:5], 0, 0, vcc
	s_mov_b32 s0, 0
	s_waitcnt vmcnt(0)
	v_subrev_co_u32_e32 v0, vcc, s2, v10
	v_subbrev_co_u32_e32 v1, vcc, 0, v11, vcc
	v_add_co_u32_e32 v2, vcc, v2, v8
	v_addc_co_u32_e32 v3, vcc, v3, v9, vcc
	v_cmp_lt_i64_e32 vcc, v[2:3], v[0:1]
	s_and_saveexec_b64 s[4:5], vcc
	s_cbranch_execz .LBB46_36
; %bb.25:
	s_mov_b64 s[6:7], 0
	v_mov_b32_e32 v11, s15
	v_mov_b32_e32 v14, s0
	s_branch .LBB46_27
.LBB46_26:                              ;   in Loop: Header=BB46_27 Depth=1
	s_or_b64 exec, exec, s[16:17]
	v_add_co_u32_e32 v2, vcc, 8, v2
	v_addc_co_u32_e32 v3, vcc, 0, v3, vcc
	v_cndmask_b32_e64 v8, 0, 1, s[8:9]
	v_cmp_ge_i64_e32 vcc, v[2:3], v[0:1]
	s_or_b64 s[6:7], vcc, s[6:7]
	v_add_co_u32_e32 v6, vcc, v6, v8
	v_addc_co_u32_e32 v7, vcc, 0, v7, vcc
	s_andn2_b64 exec, exec, s[6:7]
	s_cbranch_execz .LBB46_35
.LBB46_27:                              ; =>This Loop Header: Depth=1
                                        ;     Child Loop BB46_30 Depth 2
	v_lshlrev_b64 v[8:9], 3, v[2:3]
	v_add_co_u32_e32 v8, vcc, s14, v8
	v_addc_co_u32_e32 v9, vcc, v11, v9, vcc
	global_load_dwordx2 v[8:9], v[8:9], off
	s_mov_b64 s[16:17], 0
                                        ; implicit-def: $sgpr8_sgpr9
                                        ; implicit-def: $sgpr10_sgpr11
                                        ; implicit-def: $sgpr12_sgpr13
                                        ; implicit-def: $sgpr18_sgpr19
	s_waitcnt vmcnt(0)
	v_subrev_co_u32_e32 v8, vcc, s2, v8
	v_mul_lo_u32 v10, v8, 15
	v_subb_co_u32_e32 v9, vcc, v9, v14, vcc
	v_and_b32_e32 v10, 63, v10
	s_branch .LBB46_30
.LBB46_28:                              ;   in Loop: Header=BB46_30 Depth=2
	s_or_b64 exec, exec, s[26:27]
	s_andn2_b64 s[12:13], s[12:13], exec
	s_and_b64 s[18:19], s[22:23], exec
	s_andn2_b64 s[10:11], s[10:11], exec
	s_and_b64 s[0:1], s[0:1], exec
	s_or_b64 s[12:13], s[12:13], s[18:19]
	s_or_b64 s[10:11], s[10:11], s[0:1]
                                        ; implicit-def: $sgpr18_sgpr19
.LBB46_29:                              ;   in Loop: Header=BB46_30 Depth=2
	s_or_b64 exec, exec, s[20:21]
	s_xor_b64 s[0:1], s[10:11], -1
	s_and_b64 s[0:1], exec, s[0:1]
	s_or_b64 s[16:17], s[0:1], s[16:17]
	s_andn2_b64 s[0:1], s[18:19], exec
	s_and_b64 s[20:21], s[12:13], exec
	s_or_b64 s[18:19], s[0:1], s[20:21]
	s_andn2_b64 s[0:1], s[8:9], exec
	s_or_b64 s[8:9], s[0:1], s[20:21]
	s_andn2_b64 exec, exec, s[16:17]
	s_cbranch_execz .LBB46_26
.LBB46_30:                              ;   Parent Loop BB46_27 Depth=1
                                        ; =>  This Inner Loop Header: Depth=2
	v_lshl_add_u32 v16, v10, 3, v18
	ds_read_b64 v[12:13], v16
	s_andn2_b64 s[12:13], s[12:13], exec
	s_andn2_b64 s[10:11], s[10:11], exec
	s_waitcnt lgkmcnt(0)
	v_cmp_ne_u64_e32 vcc, v[12:13], v[8:9]
	s_and_saveexec_b64 s[20:21], vcc
	s_cbranch_execz .LBB46_29
; %bb.31:                               ;   in Loop: Header=BB46_30 Depth=2
	v_cmp_ne_u64_e32 vcc, -1, v[12:13]
                                        ; implicit-def: $sgpr22_sgpr23
                                        ; implicit-def: $sgpr0_sgpr1
	s_and_saveexec_b64 s[26:27], vcc
	s_xor_b64 s[26:27], exec, s[26:27]
; %bb.32:                               ;   in Loop: Header=BB46_30 Depth=2
	v_add_u32_e32 v10, 1, v10
	v_and_b32_e32 v10, 63, v10
	s_mov_b64 s[0:1], -1
	s_and_b64 s[22:23], s[18:19], exec
                                        ; implicit-def: $vgpr16
; %bb.33:                               ;   in Loop: Header=BB46_30 Depth=2
	s_andn2_saveexec_b64 s[26:27], s[26:27]
	s_cbranch_execz .LBB46_28
; %bb.34:                               ;   in Loop: Header=BB46_30 Depth=2
	v_pk_mov_b32 v[12:13], -1, -1
	ds_cmpst_rtn_b64 v[12:13], v16, v[12:13], v[8:9]
	s_andn2_b64 s[28:29], s[0:1], exec
	s_andn2_b64 s[22:23], s[22:23], exec
	s_waitcnt lgkmcnt(0)
	v_cmp_eq_u64_e64 s[0:1], -1, v[12:13]
	v_cmp_ne_u64_e32 vcc, -1, v[12:13]
	s_or_b64 s[18:19], s[0:1], s[18:19]
	s_and_b64 s[0:1], vcc, exec
	s_and_b64 s[18:19], s[18:19], exec
	s_or_b64 s[0:1], s[28:29], s[0:1]
	s_or_b64 s[22:23], s[22:23], s[18:19]
	s_branch .LBB46_28
.LBB46_35:
	s_or_b64 exec, exec, s[6:7]
.LBB46_36:
	s_or_b64 exec, exec, s[4:5]
.LBB46_37:
	v_mov_b32_dpp v0, v6 row_shr:1 row_mask:0xf bank_mask:0xf
	v_add_co_u32_e32 v0, vcc, v6, v0
	v_addc_co_u32_e32 v2, vcc, 0, v7, vcc
	v_mov_b32_dpp v1, v7 row_shr:1 row_mask:0xf bank_mask:0xf
	v_add_co_u32_e32 v3, vcc, 0, v0
	v_addc_co_u32_e32 v1, vcc, v1, v2, vcc
	v_mov_b32_dpp v0, v0 row_shr:2 row_mask:0xf bank_mask:0xf
	v_add_co_u32_e32 v3, vcc, v3, v0
	v_mov_b32_dpp v2, v1 row_shr:2 row_mask:0xf bank_mask:0xf
	v_addc_co_u32_e32 v1, vcc, 0, v1, vcc
	v_add_co_u32_e32 v0, vcc, 0, v3
	v_addc_co_u32_e32 v1, vcc, v1, v2, vcc
	v_mov_b32_dpp v2, v3 row_shr:4 row_mask:0xf bank_mask:0xe
	s_nop 0
	v_mov_b32_dpp v3, v1 row_shr:4 row_mask:0xf bank_mask:0xe
	v_cmp_eq_u32_e32 vcc, 7, v15
	s_and_b64 exec, exec, vcc
	s_cbranch_execz .LBB46_39
; %bb.38:
	v_mov_b32_e32 v6, s25
	v_add_co_u32_e32 v4, vcc, s24, v4
	v_addc_co_u32_e32 v5, vcc, v6, v5, vcc
	v_add_co_u32_e32 v0, vcc, v2, v0
	v_addc_co_u32_e32 v1, vcc, v3, v1, vcc
	global_store_dwordx2 v[4:5], v[0:1], off
.LBB46_39:
	s_endpgm
	.section	.rodata,"a",@progbits
	.p2align	6, 0x0
	.amdhsa_kernel _ZN9rocsparseL22csrgemm_nnz_wf_per_rowILj256ELj8ELj64ELj79EllEEvT4_PKS1_S3_PKT3_S3_S6_S3_S6_S3_PS4_21rocsparse_index_base_S8_S8_bb
		.amdhsa_group_segment_fixed_size 16384
		.amdhsa_private_segment_fixed_size 0
		.amdhsa_kernarg_size 96
		.amdhsa_user_sgpr_count 6
		.amdhsa_user_sgpr_private_segment_buffer 1
		.amdhsa_user_sgpr_dispatch_ptr 0
		.amdhsa_user_sgpr_queue_ptr 0
		.amdhsa_user_sgpr_kernarg_segment_ptr 1
		.amdhsa_user_sgpr_dispatch_id 0
		.amdhsa_user_sgpr_flat_scratch_init 0
		.amdhsa_user_sgpr_kernarg_preload_length 0
		.amdhsa_user_sgpr_kernarg_preload_offset 0
		.amdhsa_user_sgpr_private_segment_size 0
		.amdhsa_uses_dynamic_stack 0
		.amdhsa_system_sgpr_private_segment_wavefront_offset 0
		.amdhsa_system_sgpr_workgroup_id_x 1
		.amdhsa_system_sgpr_workgroup_id_y 0
		.amdhsa_system_sgpr_workgroup_id_z 0
		.amdhsa_system_sgpr_workgroup_info 0
		.amdhsa_system_vgpr_workitem_id 0
		.amdhsa_next_free_vgpr 23
		.amdhsa_next_free_sgpr 48
		.amdhsa_accum_offset 24
		.amdhsa_reserve_vcc 1
		.amdhsa_reserve_flat_scratch 0
		.amdhsa_float_round_mode_32 0
		.amdhsa_float_round_mode_16_64 0
		.amdhsa_float_denorm_mode_32 3
		.amdhsa_float_denorm_mode_16_64 3
		.amdhsa_dx10_clamp 1
		.amdhsa_ieee_mode 1
		.amdhsa_fp16_overflow 0
		.amdhsa_tg_split 0
		.amdhsa_exception_fp_ieee_invalid_op 0
		.amdhsa_exception_fp_denorm_src 0
		.amdhsa_exception_fp_ieee_div_zero 0
		.amdhsa_exception_fp_ieee_overflow 0
		.amdhsa_exception_fp_ieee_underflow 0
		.amdhsa_exception_fp_ieee_inexact 0
		.amdhsa_exception_int_div_zero 0
	.end_amdhsa_kernel
	.section	.text._ZN9rocsparseL22csrgemm_nnz_wf_per_rowILj256ELj8ELj64ELj79EllEEvT4_PKS1_S3_PKT3_S3_S6_S3_S6_S3_PS4_21rocsparse_index_base_S8_S8_bb,"axG",@progbits,_ZN9rocsparseL22csrgemm_nnz_wf_per_rowILj256ELj8ELj64ELj79EllEEvT4_PKS1_S3_PKT3_S3_S6_S3_S6_S3_PS4_21rocsparse_index_base_S8_S8_bb,comdat
.Lfunc_end46:
	.size	_ZN9rocsparseL22csrgemm_nnz_wf_per_rowILj256ELj8ELj64ELj79EllEEvT4_PKS1_S3_PKT3_S3_S6_S3_S6_S3_PS4_21rocsparse_index_base_S8_S8_bb, .Lfunc_end46-_ZN9rocsparseL22csrgemm_nnz_wf_per_rowILj256ELj8ELj64ELj79EllEEvT4_PKS1_S3_PKT3_S3_S6_S3_S6_S3_PS4_21rocsparse_index_base_S8_S8_bb
                                        ; -- End function
	.section	.AMDGPU.csdata,"",@progbits
; Kernel info:
; codeLenInByte = 1368
; NumSgprs: 52
; NumVgprs: 23
; NumAgprs: 0
; TotalNumVgprs: 23
; ScratchSize: 0
; MemoryBound: 0
; FloatMode: 240
; IeeeMode: 1
; LDSByteSize: 16384 bytes/workgroup (compile time only)
; SGPRBlocks: 6
; VGPRBlocks: 2
; NumSGPRsForWavesPerEU: 52
; NumVGPRsForWavesPerEU: 23
; AccumOffset: 24
; Occupancy: 4
; WaveLimiterHint : 1
; COMPUTE_PGM_RSRC2:SCRATCH_EN: 0
; COMPUTE_PGM_RSRC2:USER_SGPR: 6
; COMPUTE_PGM_RSRC2:TRAP_HANDLER: 0
; COMPUTE_PGM_RSRC2:TGID_X_EN: 1
; COMPUTE_PGM_RSRC2:TGID_Y_EN: 0
; COMPUTE_PGM_RSRC2:TGID_Z_EN: 0
; COMPUTE_PGM_RSRC2:TIDIG_COMP_CNT: 0
; COMPUTE_PGM_RSRC3_GFX90A:ACCUM_OFFSET: 5
; COMPUTE_PGM_RSRC3_GFX90A:TG_SPLIT: 0
	.section	.text._ZN9rocsparseL25csrgemm_nnz_block_per_rowILj128ELj8ELj512ELj79EllEEvPKT4_S3_PKT3_S3_S6_S3_S6_S3_PS4_21rocsparse_index_base_S8_S8_bb,"axG",@progbits,_ZN9rocsparseL25csrgemm_nnz_block_per_rowILj128ELj8ELj512ELj79EllEEvPKT4_S3_PKT3_S3_S6_S3_S6_S3_PS4_21rocsparse_index_base_S8_S8_bb,comdat
	.globl	_ZN9rocsparseL25csrgemm_nnz_block_per_rowILj128ELj8ELj512ELj79EllEEvPKT4_S3_PKT3_S3_S6_S3_S6_S3_PS4_21rocsparse_index_base_S8_S8_bb ; -- Begin function _ZN9rocsparseL25csrgemm_nnz_block_per_rowILj128ELj8ELj512ELj79EllEEvPKT4_S3_PKT3_S3_S6_S3_S6_S3_PS4_21rocsparse_index_base_S8_S8_bb
	.p2align	8
	.type	_ZN9rocsparseL25csrgemm_nnz_block_per_rowILj128ELj8ELj512ELj79EllEEvPKT4_S3_PKT3_S3_S6_S3_S6_S3_PS4_21rocsparse_index_base_S8_S8_bb,@function
_ZN9rocsparseL25csrgemm_nnz_block_per_rowILj128ELj8ELj512ELj79EllEEvPKT4_S3_PKT3_S3_S6_S3_S6_S3_PS4_21rocsparse_index_base_S8_S8_bb: ; @_ZN9rocsparseL25csrgemm_nnz_block_per_rowILj128ELj8ELj512ELj79EllEEvPKT4_S3_PKT3_S3_S6_S3_S6_S3_PS4_21rocsparse_index_base_S8_S8_bb
; %bb.0:
	s_load_dwordx8 s[16:23], s[4:5], 0x0
	s_mov_b32 s7, 0
	v_lshl_add_u32 v1, v0, 3, 0
	s_waitcnt lgkmcnt(0)
	s_load_dwordx2 s[0:1], s[16:17], 0x0
	s_nop 0
	s_load_dwordx2 s[16:17], s[4:5], 0x40
	s_load_dwordx8 s[8:15], s[4:5], 0x20
	s_waitcnt lgkmcnt(0)
	s_lshl_b64 s[0:1], s[0:1], 3
	s_add_u32 s2, s18, s0
	s_addc_u32 s3, s19, s1
	s_lshl_b64 s[0:1], s[6:7], 3
	s_add_u32 s0, s2, s0
	s_addc_u32 s1, s3, s1
	s_load_dwordx2 s[6:7], s[0:1], 0x0
	s_movk_i32 s0, 0x200
	v_cmp_gt_u32_e32 vcc, s0, v0
	s_and_saveexec_b64 s[0:1], vcc
	s_cbranch_execz .LBB47_3
; %bb.1:
	v_mov_b32_e32 v2, -1
	v_or_b32_e32 v4, 0xffffff80, v0
	s_mov_b64 s[2:3], 0
	v_mov_b32_e32 v3, v2
	s_movk_i32 s18, 0x17f
	v_mov_b32_e32 v5, v1
.LBB47_2:                               ; =>This Inner Loop Header: Depth=1
	v_add_u32_e32 v4, 0x80, v4
	v_cmp_lt_u32_e32 vcc, s18, v4
	ds_write_b64 v5, v[2:3]
	s_or_b64 s[2:3], vcc, s[2:3]
	v_add_u32_e32 v5, 0x400, v5
	s_andn2_b64 exec, exec, s[2:3]
	s_cbranch_execnz .LBB47_2
.LBB47_3:
	s_or_b64 exec, exec, s[0:1]
	s_load_dwordx4 s[0:3], s[4:5], 0x48
	v_and_b32_e32 v16, 7, v0
	v_lshrrev_b32_e32 v13, 3, v0
	v_pk_mov_b32 v[2:3], 0, 0
	s_waitcnt lgkmcnt(0)
	s_bitcmp1_b32 s3, 0
	s_cselect_b64 s[18:19], -1, 0
	s_and_b64 vcc, exec, s[18:19]
	s_barrier
	s_cbranch_vccz .LBB47_21
; %bb.4:
	s_lshl_b64 s[18:19], s[6:7], 3
	s_add_u32 s18, s20, s18
	s_addc_u32 s19, s21, s19
	s_load_dwordx4 s[28:31], s[18:19], 0x0
	v_subrev_co_u32_e32 v2, vcc, s0, v13
	v_subb_co_u32_e64 v3, s[20:21], 0, 0, vcc
	s_waitcnt lgkmcnt(0)
	s_sub_u32 s18, s30, s0
	v_mov_b32_e32 v5, s29
	v_add_co_u32_e32 v4, vcc, s28, v2
	s_subb_u32 s19, s31, 0
	v_addc_co_u32_e32 v5, vcc, v3, v5, vcc
	s_mov_b32 s26, 0
	v_cmp_gt_i64_e32 vcc, s[18:19], v[4:5]
	v_pk_mov_b32 v[2:3], 0, 0
	s_and_saveexec_b64 s[20:21], vcc
	s_cbranch_execz .LBB47_20
; %bb.5:
	v_subrev_co_u32_e32 v17, vcc, s1, v16
	s_mov_b32 s3, s0
	s_mov_b32 s33, s1
	v_subb_co_u32_e64 v18, s[0:1], 0, 0, vcc
	s_mov_b64 s[24:25], 0
	v_pk_mov_b32 v[2:3], 0, 0
	v_mov_b32_e32 v19, s23
	v_mov_b32_e32 v20, s26
	;; [unrolled: 1-line block ×4, first 2 shown]
	s_movk_i32 s9, 0x4f
	s_branch .LBB47_8
.LBB47_6:                               ;   in Loop: Header=BB47_8 Depth=1
	s_or_b64 exec, exec, s[28:29]
.LBB47_7:                               ;   in Loop: Header=BB47_8 Depth=1
	s_or_b64 exec, exec, s[26:27]
	v_add_co_u32_e32 v4, vcc, 16, v4
	v_addc_co_u32_e32 v5, vcc, 0, v5, vcc
	v_cmp_le_i64_e32 vcc, s[18:19], v[4:5]
	s_or_b64 s[24:25], vcc, s[24:25]
	s_andn2_b64 exec, exec, s[24:25]
	s_cbranch_execz .LBB47_19
.LBB47_8:                               ; =>This Loop Header: Depth=1
                                        ;     Child Loop BB47_11 Depth 2
                                        ;       Child Loop BB47_14 Depth 3
	v_lshlrev_b64 v[6:7], 3, v[4:5]
	v_add_co_u32_e32 v6, vcc, s22, v6
	v_addc_co_u32_e32 v7, vcc, v19, v7, vcc
	global_load_dwordx2 v[6:7], v[6:7], off
	s_waitcnt vmcnt(0)
	v_subrev_co_u32_e32 v6, vcc, s3, v6
	v_subb_co_u32_e32 v7, vcc, v7, v20, vcc
	v_lshlrev_b64 v[6:7], 3, v[6:7]
	v_add_co_u32_e32 v6, vcc, s8, v6
	v_addc_co_u32_e32 v7, vcc, v21, v7, vcc
	global_load_dwordx4 v[8:11], v[6:7], off
	s_waitcnt vmcnt(0)
	v_subrev_co_u32_e32 v6, vcc, s33, v10
	v_subb_co_u32_e32 v7, vcc, v11, v22, vcc
	v_add_co_u32_e32 v8, vcc, v17, v8
	v_addc_co_u32_e32 v9, vcc, v18, v9, vcc
	v_cmp_lt_i64_e32 vcc, v[8:9], v[6:7]
	s_and_saveexec_b64 s[26:27], vcc
	s_cbranch_execz .LBB47_7
; %bb.9:                                ;   in Loop: Header=BB47_8 Depth=1
	s_mov_b64 s[28:29], 0
	s_branch .LBB47_11
.LBB47_10:                              ;   in Loop: Header=BB47_11 Depth=2
	s_or_b64 exec, exec, s[38:39]
	v_add_co_u32_e32 v8, vcc, 8, v8
	v_addc_co_u32_e32 v9, vcc, 0, v9, vcc
	v_cndmask_b32_e64 v10, 0, 1, s[30:31]
	v_cmp_ge_i64_e32 vcc, v[8:9], v[6:7]
	s_or_b64 s[28:29], vcc, s[28:29]
	v_add_co_u32_e32 v2, vcc, v2, v10
	v_addc_co_u32_e32 v3, vcc, 0, v3, vcc
	s_andn2_b64 exec, exec, s[28:29]
	s_cbranch_execz .LBB47_6
.LBB47_11:                              ;   Parent Loop BB47_8 Depth=1
                                        ; =>  This Loop Header: Depth=2
                                        ;       Child Loop BB47_14 Depth 3
	v_lshlrev_b64 v[10:11], 3, v[8:9]
	v_mov_b32_e32 v12, s11
	v_add_co_u32_e32 v10, vcc, s10, v10
	v_addc_co_u32_e32 v11, vcc, v12, v11, vcc
	global_load_dwordx2 v[10:11], v[10:11], off
	s_mov_b64 s[38:39], 0
                                        ; implicit-def: $sgpr30_sgpr31
                                        ; implicit-def: $sgpr34_sgpr35
                                        ; implicit-def: $sgpr36_sgpr37
                                        ; implicit-def: $sgpr40_sgpr41
	s_waitcnt vmcnt(0)
	v_subrev_co_u32_e32 v10, vcc, s33, v10
	v_mul_lo_u32 v12, v10, s9
	v_subb_co_u32_e32 v11, vcc, v11, v22, vcc
	v_and_b32_e32 v12, 0x1ff, v12
	s_branch .LBB47_14
.LBB47_12:                              ;   in Loop: Header=BB47_14 Depth=3
	s_or_b64 exec, exec, s[46:47]
	s_andn2_b64 s[36:37], s[36:37], exec
	s_and_b64 s[40:41], s[44:45], exec
	s_andn2_b64 s[34:35], s[34:35], exec
	s_and_b64 s[0:1], s[0:1], exec
	s_or_b64 s[36:37], s[36:37], s[40:41]
	s_or_b64 s[34:35], s[34:35], s[0:1]
                                        ; implicit-def: $sgpr40_sgpr41
.LBB47_13:                              ;   in Loop: Header=BB47_14 Depth=3
	s_or_b64 exec, exec, s[42:43]
	s_xor_b64 s[0:1], s[34:35], -1
	s_and_b64 s[0:1], exec, s[0:1]
	s_or_b64 s[38:39], s[0:1], s[38:39]
	s_andn2_b64 s[0:1], s[40:41], exec
	s_and_b64 s[42:43], s[36:37], exec
	s_or_b64 s[40:41], s[0:1], s[42:43]
	s_andn2_b64 s[0:1], s[30:31], exec
	s_or_b64 s[30:31], s[0:1], s[42:43]
	s_andn2_b64 exec, exec, s[38:39]
	s_cbranch_execz .LBB47_10
.LBB47_14:                              ;   Parent Loop BB47_8 Depth=1
                                        ;     Parent Loop BB47_11 Depth=2
                                        ; =>    This Inner Loop Header: Depth=3
	v_lshl_add_u32 v23, v12, 3, 0
	ds_read_b64 v[14:15], v23
	s_andn2_b64 s[36:37], s[36:37], exec
	s_andn2_b64 s[34:35], s[34:35], exec
	s_waitcnt lgkmcnt(0)
	v_cmp_ne_u64_e32 vcc, v[14:15], v[10:11]
	s_and_saveexec_b64 s[42:43], vcc
	s_cbranch_execz .LBB47_13
; %bb.15:                               ;   in Loop: Header=BB47_14 Depth=3
	v_cmp_ne_u64_e32 vcc, -1, v[14:15]
                                        ; implicit-def: $sgpr44_sgpr45
                                        ; implicit-def: $sgpr0_sgpr1
	s_and_saveexec_b64 s[46:47], vcc
	s_xor_b64 s[46:47], exec, s[46:47]
; %bb.16:                               ;   in Loop: Header=BB47_14 Depth=3
	v_add_u32_e32 v12, 1, v12
	v_and_b32_e32 v12, 0x1ff, v12
	s_mov_b64 s[0:1], -1
	s_and_b64 s[44:45], s[40:41], exec
                                        ; implicit-def: $vgpr23
; %bb.17:                               ;   in Loop: Header=BB47_14 Depth=3
	s_andn2_saveexec_b64 s[46:47], s[46:47]
	s_cbranch_execz .LBB47_12
; %bb.18:                               ;   in Loop: Header=BB47_14 Depth=3
	v_pk_mov_b32 v[14:15], -1, -1
	ds_cmpst_rtn_b64 v[14:15], v23, v[14:15], v[10:11]
	s_andn2_b64 s[48:49], s[0:1], exec
	s_andn2_b64 s[44:45], s[44:45], exec
	s_waitcnt lgkmcnt(0)
	v_cmp_eq_u64_e64 s[0:1], -1, v[14:15]
	v_cmp_ne_u64_e32 vcc, -1, v[14:15]
	s_or_b64 s[40:41], s[0:1], s[40:41]
	s_and_b64 s[0:1], vcc, exec
	s_and_b64 s[40:41], s[40:41], exec
	s_or_b64 s[0:1], s[48:49], s[0:1]
	s_or_b64 s[44:45], s[44:45], s[40:41]
	s_branch .LBB47_12
.LBB47_19:
	s_or_b64 exec, exec, s[24:25]
.LBB47_20:
	s_or_b64 exec, exec, s[20:21]
.LBB47_21:
	s_load_dword s0, s[4:5], 0x54
	s_waitcnt lgkmcnt(0)
	s_bfe_u32 s0, s0, 0x10008
	s_cmp_eq_u32 s0, 0
	s_mov_b32 s0, 0
	s_cbranch_scc1 .LBB47_35
; %bb.22:
	s_lshl_b64 s[4:5], s[6:7], 3
	s_add_u32 s4, s12, s4
	s_addc_u32 s5, s13, s5
	s_load_dwordx4 s[8:11], s[4:5], 0x0
	v_subrev_co_u32_e32 v4, vcc, s2, v13
	v_subb_co_u32_e64 v5, s[4:5], 0, 0, vcc
	s_waitcnt lgkmcnt(0)
	s_sub_u32 s4, s10, s2
	v_mov_b32_e32 v6, s9
	v_add_co_u32_e32 v4, vcc, s8, v4
	s_subb_u32 s5, s11, 0
	v_addc_co_u32_e32 v5, vcc, v5, v6, vcc
	v_cmp_gt_i64_e32 vcc, s[4:5], v[4:5]
	s_and_saveexec_b64 s[8:9], vcc
	s_cbranch_execz .LBB47_34
; %bb.23:
	s_mov_b64 s[10:11], 0
	v_mov_b32_e32 v9, s15
	v_mov_b32_e32 v12, s0
	s_movk_i32 s3, 0x4f
	s_branch .LBB47_25
.LBB47_24:                              ;   in Loop: Header=BB47_25 Depth=1
	s_or_b64 exec, exec, s[22:23]
	v_add_co_u32_e32 v4, vcc, 16, v4
	v_addc_co_u32_e32 v5, vcc, 0, v5, vcc
	v_cndmask_b32_e64 v6, 0, 1, s[12:13]
	v_cmp_le_i64_e32 vcc, s[4:5], v[4:5]
	s_or_b64 s[10:11], vcc, s[10:11]
	v_add_co_u32_e32 v2, vcc, v2, v6
	v_addc_co_u32_e32 v3, vcc, 0, v3, vcc
	s_andn2_b64 exec, exec, s[10:11]
	s_cbranch_execz .LBB47_33
.LBB47_25:                              ; =>This Loop Header: Depth=1
                                        ;     Child Loop BB47_28 Depth 2
	v_lshlrev_b64 v[6:7], 3, v[4:5]
	v_add_co_u32_e32 v6, vcc, s14, v6
	v_addc_co_u32_e32 v7, vcc, v9, v7, vcc
	global_load_dwordx2 v[6:7], v[6:7], off
	s_mov_b64 s[22:23], 0
                                        ; implicit-def: $sgpr12_sgpr13
                                        ; implicit-def: $sgpr18_sgpr19
                                        ; implicit-def: $sgpr20_sgpr21
                                        ; implicit-def: $sgpr24_sgpr25
	s_waitcnt vmcnt(0)
	v_subrev_co_u32_e32 v6, vcc, s2, v6
	v_mul_lo_u32 v8, v6, s3
	v_subb_co_u32_e32 v7, vcc, v7, v12, vcc
	v_and_b32_e32 v8, 0x1ff, v8
	s_branch .LBB47_28
.LBB47_26:                              ;   in Loop: Header=BB47_28 Depth=2
	s_or_b64 exec, exec, s[30:31]
	s_andn2_b64 s[20:21], s[20:21], exec
	s_and_b64 s[24:25], s[28:29], exec
	s_andn2_b64 s[18:19], s[18:19], exec
	s_and_b64 s[0:1], s[0:1], exec
	s_or_b64 s[20:21], s[20:21], s[24:25]
	s_or_b64 s[18:19], s[18:19], s[0:1]
                                        ; implicit-def: $sgpr24_sgpr25
.LBB47_27:                              ;   in Loop: Header=BB47_28 Depth=2
	s_or_b64 exec, exec, s[26:27]
	s_xor_b64 s[0:1], s[18:19], -1
	s_and_b64 s[0:1], exec, s[0:1]
	s_or_b64 s[22:23], s[0:1], s[22:23]
	s_andn2_b64 s[0:1], s[24:25], exec
	s_and_b64 s[26:27], s[20:21], exec
	s_or_b64 s[24:25], s[0:1], s[26:27]
	s_andn2_b64 s[0:1], s[12:13], exec
	s_or_b64 s[12:13], s[0:1], s[26:27]
	s_andn2_b64 exec, exec, s[22:23]
	s_cbranch_execz .LBB47_24
.LBB47_28:                              ;   Parent Loop BB47_25 Depth=1
                                        ; =>  This Inner Loop Header: Depth=2
	v_lshl_add_u32 v14, v8, 3, 0
	ds_read_b64 v[10:11], v14
	s_andn2_b64 s[20:21], s[20:21], exec
	s_andn2_b64 s[18:19], s[18:19], exec
	s_waitcnt lgkmcnt(0)
	v_cmp_ne_u64_e32 vcc, v[10:11], v[6:7]
	s_and_saveexec_b64 s[26:27], vcc
	s_cbranch_execz .LBB47_27
; %bb.29:                               ;   in Loop: Header=BB47_28 Depth=2
	v_cmp_ne_u64_e32 vcc, -1, v[10:11]
                                        ; implicit-def: $sgpr28_sgpr29
                                        ; implicit-def: $sgpr0_sgpr1
	s_and_saveexec_b64 s[30:31], vcc
	s_xor_b64 s[30:31], exec, s[30:31]
; %bb.30:                               ;   in Loop: Header=BB47_28 Depth=2
	v_add_u32_e32 v8, 1, v8
	v_and_b32_e32 v8, 0x1ff, v8
	s_mov_b64 s[0:1], -1
	s_and_b64 s[28:29], s[24:25], exec
                                        ; implicit-def: $vgpr14
; %bb.31:                               ;   in Loop: Header=BB47_28 Depth=2
	s_andn2_saveexec_b64 s[30:31], s[30:31]
	s_cbranch_execz .LBB47_26
; %bb.32:                               ;   in Loop: Header=BB47_28 Depth=2
	v_pk_mov_b32 v[10:11], -1, -1
	ds_cmpst_rtn_b64 v[10:11], v14, v[10:11], v[6:7]
	s_andn2_b64 s[34:35], s[0:1], exec
	s_andn2_b64 s[28:29], s[28:29], exec
	s_waitcnt lgkmcnt(0)
	v_cmp_eq_u64_e64 s[0:1], -1, v[10:11]
	v_cmp_ne_u64_e32 vcc, -1, v[10:11]
	s_or_b64 s[24:25], s[0:1], s[24:25]
	s_and_b64 s[0:1], vcc, exec
	s_and_b64 s[24:25], s[24:25], exec
	s_or_b64 s[0:1], s[34:35], s[0:1]
	s_or_b64 s[28:29], s[28:29], s[24:25]
	s_branch .LBB47_26
.LBB47_33:
	s_or_b64 exec, exec, s[10:11]
.LBB47_34:
	s_or_b64 exec, exec, s[8:9]
.LBB47_35:
	v_mov_b32_dpp v4, v2 row_shr:1 row_mask:0xf bank_mask:0xf
	v_add_co_u32_e32 v2, vcc, v2, v4
	v_mov_b32_dpp v5, v3 row_shr:1 row_mask:0xf bank_mask:0xf
	v_addc_co_u32_e32 v3, vcc, 0, v3, vcc
	v_add_co_u32_e32 v4, vcc, 0, v2
	v_addc_co_u32_e32 v3, vcc, v5, v3, vcc
	v_mov_b32_dpp v2, v2 row_shr:2 row_mask:0xf bank_mask:0xf
	v_add_co_u32_e32 v4, vcc, v4, v2
	v_mov_b32_dpp v5, v3 row_shr:2 row_mask:0xf bank_mask:0xf
	v_addc_co_u32_e32 v3, vcc, 0, v3, vcc
	v_add_co_u32_e32 v2, vcc, 0, v4
	v_addc_co_u32_e32 v3, vcc, v3, v5, vcc
	v_mov_b32_dpp v4, v4 row_shr:4 row_mask:0xf bank_mask:0xe
	s_nop 0
	v_mov_b32_dpp v5, v3 row_shr:4 row_mask:0xf bank_mask:0xe
	v_cmp_eq_u32_e32 vcc, 7, v16
	s_barrier
	s_and_saveexec_b64 s[0:1], vcc
	s_cbranch_execz .LBB47_37
; %bb.36:
	v_add_co_u32_e32 v2, vcc, v4, v2
	v_lshl_add_u32 v6, v13, 3, 0
	v_addc_co_u32_e32 v3, vcc, v5, v3, vcc
	ds_write_b64 v6, v[2:3]
.LBB47_37:
	s_or_b64 exec, exec, s[0:1]
	v_cmp_gt_u32_e32 vcc, 16, v0
	v_pk_mov_b32 v[2:3], 0, 0
	s_waitcnt lgkmcnt(0)
	s_barrier
	s_and_saveexec_b64 s[0:1], vcc
	s_cbranch_execz .LBB47_39
; %bb.38:
	ds_read_b64 v[2:3], v1
.LBB47_39:
	s_or_b64 exec, exec, s[0:1]
	s_waitcnt lgkmcnt(0)
	v_mov_b32_dpp v1, v2 row_shr:1 row_mask:0xf bank_mask:0xf
	v_add_co_u32_e32 v1, vcc, v2, v1
	v_addc_co_u32_e32 v2, vcc, 0, v3, vcc
	v_mov_b32_dpp v4, v3 row_shr:1 row_mask:0xf bank_mask:0xf
	v_add_co_u32_e32 v3, vcc, 0, v1
	v_addc_co_u32_e32 v2, vcc, v4, v2, vcc
	v_mov_b32_dpp v1, v1 row_shr:2 row_mask:0xf bank_mask:0xf
	v_add_co_u32_e32 v1, vcc, v3, v1
	v_mov_b32_dpp v4, v2 row_shr:2 row_mask:0xf bank_mask:0xf
	v_addc_co_u32_e32 v2, vcc, 0, v2, vcc
	v_add_co_u32_e32 v3, vcc, 0, v1
	v_addc_co_u32_e32 v2, vcc, v2, v4, vcc
	v_mov_b32_dpp v1, v1 row_shr:4 row_mask:0xf bank_mask:0xe
	s_nop 0
	v_mov_b32_dpp v4, v2 row_shr:4 row_mask:0xf bank_mask:0xe
	v_add_co_u32_e32 v1, vcc, v1, v3
	v_addc_co_u32_e32 v2, vcc, v4, v2, vcc
	s_nop 0
	v_mov_b32_dpp v3, v1 row_shr:8 row_mask:0xf bank_mask:0xc
	v_mov_b32_dpp v4, v2 row_shr:8 row_mask:0xf bank_mask:0xc
	v_cmp_eq_u32_e32 vcc, 15, v0
	s_and_saveexec_b64 s[0:1], vcc
	s_cbranch_execz .LBB47_41
; %bb.40:
	s_lshl_b64 s[0:1], s[6:7], 3
	s_add_u32 s0, s16, s0
	v_add_co_u32_e32 v0, vcc, v3, v1
	s_addc_u32 s1, s17, s1
	v_mov_b32_e32 v5, 0
	v_addc_co_u32_e32 v1, vcc, v4, v2, vcc
	global_store_dwordx2 v5, v[0:1], s[0:1]
.LBB47_41:
	s_endpgm
	.section	.rodata,"a",@progbits
	.p2align	6, 0x0
	.amdhsa_kernel _ZN9rocsparseL25csrgemm_nnz_block_per_rowILj128ELj8ELj512ELj79EllEEvPKT4_S3_PKT3_S3_S6_S3_S6_S3_PS4_21rocsparse_index_base_S8_S8_bb
		.amdhsa_group_segment_fixed_size 0
		.amdhsa_private_segment_fixed_size 0
		.amdhsa_kernarg_size 88
		.amdhsa_user_sgpr_count 6
		.amdhsa_user_sgpr_private_segment_buffer 1
		.amdhsa_user_sgpr_dispatch_ptr 0
		.amdhsa_user_sgpr_queue_ptr 0
		.amdhsa_user_sgpr_kernarg_segment_ptr 1
		.amdhsa_user_sgpr_dispatch_id 0
		.amdhsa_user_sgpr_flat_scratch_init 0
		.amdhsa_user_sgpr_kernarg_preload_length 0
		.amdhsa_user_sgpr_kernarg_preload_offset 0
		.amdhsa_user_sgpr_private_segment_size 0
		.amdhsa_uses_dynamic_stack 0
		.amdhsa_system_sgpr_private_segment_wavefront_offset 0
		.amdhsa_system_sgpr_workgroup_id_x 1
		.amdhsa_system_sgpr_workgroup_id_y 0
		.amdhsa_system_sgpr_workgroup_id_z 0
		.amdhsa_system_sgpr_workgroup_info 0
		.amdhsa_system_vgpr_workitem_id 0
		.amdhsa_next_free_vgpr 24
		.amdhsa_next_free_sgpr 50
		.amdhsa_accum_offset 24
		.amdhsa_reserve_vcc 1
		.amdhsa_reserve_flat_scratch 0
		.amdhsa_float_round_mode_32 0
		.amdhsa_float_round_mode_16_64 0
		.amdhsa_float_denorm_mode_32 3
		.amdhsa_float_denorm_mode_16_64 3
		.amdhsa_dx10_clamp 1
		.amdhsa_ieee_mode 1
		.amdhsa_fp16_overflow 0
		.amdhsa_tg_split 0
		.amdhsa_exception_fp_ieee_invalid_op 0
		.amdhsa_exception_fp_denorm_src 0
		.amdhsa_exception_fp_ieee_div_zero 0
		.amdhsa_exception_fp_ieee_overflow 0
		.amdhsa_exception_fp_ieee_underflow 0
		.amdhsa_exception_fp_ieee_inexact 0
		.amdhsa_exception_int_div_zero 0
	.end_amdhsa_kernel
	.section	.text._ZN9rocsparseL25csrgemm_nnz_block_per_rowILj128ELj8ELj512ELj79EllEEvPKT4_S3_PKT3_S3_S6_S3_S6_S3_PS4_21rocsparse_index_base_S8_S8_bb,"axG",@progbits,_ZN9rocsparseL25csrgemm_nnz_block_per_rowILj128ELj8ELj512ELj79EllEEvPKT4_S3_PKT3_S3_S6_S3_S6_S3_PS4_21rocsparse_index_base_S8_S8_bb,comdat
.Lfunc_end47:
	.size	_ZN9rocsparseL25csrgemm_nnz_block_per_rowILj128ELj8ELj512ELj79EllEEvPKT4_S3_PKT3_S3_S6_S3_S6_S3_PS4_21rocsparse_index_base_S8_S8_bb, .Lfunc_end47-_ZN9rocsparseL25csrgemm_nnz_block_per_rowILj128ELj8ELj512ELj79EllEEvPKT4_S3_PKT3_S3_S6_S3_S6_S3_PS4_21rocsparse_index_base_S8_S8_bb
                                        ; -- End function
	.section	.AMDGPU.csdata,"",@progbits
; Kernel info:
; codeLenInByte = 1604
; NumSgprs: 54
; NumVgprs: 24
; NumAgprs: 0
; TotalNumVgprs: 24
; ScratchSize: 0
; MemoryBound: 0
; FloatMode: 240
; IeeeMode: 1
; LDSByteSize: 0 bytes/workgroup (compile time only)
; SGPRBlocks: 6
; VGPRBlocks: 2
; NumSGPRsForWavesPerEU: 54
; NumVGPRsForWavesPerEU: 24
; AccumOffset: 24
; Occupancy: 8
; WaveLimiterHint : 1
; COMPUTE_PGM_RSRC2:SCRATCH_EN: 0
; COMPUTE_PGM_RSRC2:USER_SGPR: 6
; COMPUTE_PGM_RSRC2:TRAP_HANDLER: 0
; COMPUTE_PGM_RSRC2:TGID_X_EN: 1
; COMPUTE_PGM_RSRC2:TGID_Y_EN: 0
; COMPUTE_PGM_RSRC2:TGID_Z_EN: 0
; COMPUTE_PGM_RSRC2:TIDIG_COMP_CNT: 0
; COMPUTE_PGM_RSRC3_GFX90A:ACCUM_OFFSET: 5
; COMPUTE_PGM_RSRC3_GFX90A:TG_SPLIT: 0
	.section	.text._ZN9rocsparseL25csrgemm_nnz_block_per_rowILj128ELj8ELj1024ELj79EllEEvPKT4_S3_PKT3_S3_S6_S3_S6_S3_PS4_21rocsparse_index_base_S8_S8_bb,"axG",@progbits,_ZN9rocsparseL25csrgemm_nnz_block_per_rowILj128ELj8ELj1024ELj79EllEEvPKT4_S3_PKT3_S3_S6_S3_S6_S3_PS4_21rocsparse_index_base_S8_S8_bb,comdat
	.globl	_ZN9rocsparseL25csrgemm_nnz_block_per_rowILj128ELj8ELj1024ELj79EllEEvPKT4_S3_PKT3_S3_S6_S3_S6_S3_PS4_21rocsparse_index_base_S8_S8_bb ; -- Begin function _ZN9rocsparseL25csrgemm_nnz_block_per_rowILj128ELj8ELj1024ELj79EllEEvPKT4_S3_PKT3_S3_S6_S3_S6_S3_PS4_21rocsparse_index_base_S8_S8_bb
	.p2align	8
	.type	_ZN9rocsparseL25csrgemm_nnz_block_per_rowILj128ELj8ELj1024ELj79EllEEvPKT4_S3_PKT3_S3_S6_S3_S6_S3_PS4_21rocsparse_index_base_S8_S8_bb,@function
_ZN9rocsparseL25csrgemm_nnz_block_per_rowILj128ELj8ELj1024ELj79EllEEvPKT4_S3_PKT3_S3_S6_S3_S6_S3_PS4_21rocsparse_index_base_S8_S8_bb: ; @_ZN9rocsparseL25csrgemm_nnz_block_per_rowILj128ELj8ELj1024ELj79EllEEvPKT4_S3_PKT3_S3_S6_S3_S6_S3_PS4_21rocsparse_index_base_S8_S8_bb
; %bb.0:
	s_load_dwordx4 s[0:3], s[4:5], 0x0
	s_mov_b32 s7, 0
	v_mov_b32_e32 v2, -1
	v_lshl_add_u32 v1, v0, 3, 0
	v_mov_b32_e32 v3, v2
	s_waitcnt lgkmcnt(0)
	s_load_dwordx2 s[0:1], s[0:1], 0x0
	ds_write_b64 v1, v[2:3]
	s_waitcnt lgkmcnt(0)
	s_lshl_b64 s[0:1], s[0:1], 3
	s_add_u32 s2, s2, s0
	s_addc_u32 s3, s3, s1
	s_lshl_b64 s[0:1], s[6:7], 3
	s_add_u32 s0, s2, s0
	s_addc_u32 s1, s3, s1
	s_load_dwordx2 s[6:7], s[0:1], 0x0
	s_movk_i32 s0, 0x380
	v_cmp_gt_u32_e32 vcc, s0, v0
	s_and_saveexec_b64 s[0:1], vcc
	s_cbranch_execz .LBB48_8
; %bb.1:
	s_movk_i32 s2, 0x300
	v_cmp_gt_u32_e32 vcc, s2, v0
	ds_write_b64 v1, v[2:3] offset:1024
	s_and_saveexec_b64 s[2:3], vcc
	s_xor_b64 s[2:3], exec, s[2:3]
	s_cbranch_execz .LBB48_8
; %bb.2:
	v_mov_b32_e32 v2, -1
	s_movk_i32 s2, 0x280
	v_mov_b32_e32 v3, v2
	v_cmp_gt_u32_e32 vcc, s2, v0
	ds_write_b64 v1, v[2:3] offset:2048
	s_and_saveexec_b64 s[2:3], vcc
	s_xor_b64 s[2:3], exec, s[2:3]
	s_cbranch_execz .LBB48_8
; %bb.3:
	s_movk_i32 s2, 0x200
	v_cmp_gt_u32_e32 vcc, s2, v0
	ds_write_b64 v1, v[2:3] offset:3072
	s_and_saveexec_b64 s[2:3], vcc
	s_xor_b64 s[2:3], exec, s[2:3]
	s_cbranch_execz .LBB48_8
; %bb.4:
	v_mov_b32_e32 v2, -1
	s_movk_i32 s2, 0x180
	v_mov_b32_e32 v3, v2
	v_cmp_gt_u32_e32 vcc, s2, v0
	ds_write_b64 v1, v[2:3] offset:4096
	s_and_saveexec_b64 s[2:3], vcc
	s_xor_b64 s[2:3], exec, s[2:3]
	;; [unrolled: 16-line block ×3, first 2 shown]
	s_cbranch_execz .LBB48_8
; %bb.7:
	ds_write_b64 v1, v[2:3] offset:7168
.LBB48_8:
	s_or_b64 exec, exec, s[0:1]
	s_load_dwordx4 s[0:3], s[4:5], 0x48
	v_and_b32_e32 v16, 7, v0
	v_lshrrev_b32_e32 v13, 3, v0
	v_pk_mov_b32 v[2:3], 0, 0
	s_waitcnt lgkmcnt(0)
	s_bitcmp1_b32 s3, 0
	s_cselect_b64 s[8:9], -1, 0
	s_and_b64 vcc, exec, s[8:9]
	s_barrier
	s_cbranch_vccz .LBB48_26
; %bb.9:
	s_load_dwordx2 s[8:9], s[4:5], 0x10
	s_lshl_b64 s[10:11], s[6:7], 3
	v_subrev_co_u32_e32 v2, vcc, s0, v13
	v_subb_co_u32_e64 v3, s[12:13], 0, 0, vcc
	s_waitcnt lgkmcnt(0)
	s_add_u32 s8, s8, s10
	s_addc_u32 s9, s9, s11
	s_load_dwordx4 s[8:11], s[8:9], 0x0
	s_mov_b32 s20, 0
	s_waitcnt lgkmcnt(0)
	s_sub_u32 s12, s10, s0
	v_mov_b32_e32 v5, s9
	v_add_co_u32_e32 v4, vcc, s8, v2
	s_subb_u32 s13, s11, 0
	v_addc_co_u32_e32 v5, vcc, v3, v5, vcc
	v_cmp_gt_i64_e32 vcc, s[12:13], v[4:5]
	v_pk_mov_b32 v[2:3], 0, 0
	s_and_saveexec_b64 s[14:15], vcc
	s_cbranch_execz .LBB48_25
; %bb.10:
	s_load_dwordx4 s[8:11], s[4:5], 0x18
	s_load_dwordx2 s[16:17], s[4:5], 0x28
	v_subrev_co_u32_e32 v17, vcc, s1, v16
	s_mov_b32 s3, s0
	s_mov_b32 s33, s1
	v_subb_co_u32_e64 v18, s[0:1], 0, 0, vcc
	s_mov_b64 s[18:19], 0
	v_pk_mov_b32 v[2:3], 0, 0
	s_waitcnt lgkmcnt(0)
	v_mov_b32_e32 v19, s9
	v_mov_b32_e32 v20, s20
	;; [unrolled: 1-line block ×4, first 2 shown]
	s_movk_i32 s9, 0x4f
	s_branch .LBB48_13
.LBB48_11:                              ;   in Loop: Header=BB48_13 Depth=1
	s_or_b64 exec, exec, s[22:23]
.LBB48_12:                              ;   in Loop: Header=BB48_13 Depth=1
	s_or_b64 exec, exec, s[20:21]
	v_add_co_u32_e32 v4, vcc, 16, v4
	v_addc_co_u32_e32 v5, vcc, 0, v5, vcc
	v_cmp_le_i64_e32 vcc, s[12:13], v[4:5]
	s_or_b64 s[18:19], vcc, s[18:19]
	s_andn2_b64 exec, exec, s[18:19]
	s_cbranch_execz .LBB48_24
.LBB48_13:                              ; =>This Loop Header: Depth=1
                                        ;     Child Loop BB48_16 Depth 2
                                        ;       Child Loop BB48_19 Depth 3
	v_lshlrev_b64 v[6:7], 3, v[4:5]
	v_add_co_u32_e32 v6, vcc, s8, v6
	v_addc_co_u32_e32 v7, vcc, v19, v7, vcc
	global_load_dwordx2 v[6:7], v[6:7], off
	s_waitcnt vmcnt(0)
	v_subrev_co_u32_e32 v6, vcc, s3, v6
	v_subb_co_u32_e32 v7, vcc, v7, v20, vcc
	v_lshlrev_b64 v[6:7], 3, v[6:7]
	v_add_co_u32_e32 v6, vcc, s10, v6
	v_addc_co_u32_e32 v7, vcc, v21, v7, vcc
	global_load_dwordx4 v[8:11], v[6:7], off
	s_waitcnt vmcnt(0)
	v_subrev_co_u32_e32 v6, vcc, s33, v10
	v_subb_co_u32_e32 v7, vcc, v11, v22, vcc
	v_add_co_u32_e32 v8, vcc, v17, v8
	v_addc_co_u32_e32 v9, vcc, v18, v9, vcc
	v_cmp_lt_i64_e32 vcc, v[8:9], v[6:7]
	s_and_saveexec_b64 s[20:21], vcc
	s_cbranch_execz .LBB48_12
; %bb.14:                               ;   in Loop: Header=BB48_13 Depth=1
	s_mov_b64 s[22:23], 0
	s_branch .LBB48_16
.LBB48_15:                              ;   in Loop: Header=BB48_16 Depth=2
	s_or_b64 exec, exec, s[30:31]
	v_add_co_u32_e32 v8, vcc, 8, v8
	v_addc_co_u32_e32 v9, vcc, 0, v9, vcc
	v_cndmask_b32_e64 v10, 0, 1, s[24:25]
	v_cmp_ge_i64_e32 vcc, v[8:9], v[6:7]
	s_or_b64 s[22:23], vcc, s[22:23]
	v_add_co_u32_e32 v2, vcc, v2, v10
	v_addc_co_u32_e32 v3, vcc, 0, v3, vcc
	s_andn2_b64 exec, exec, s[22:23]
	s_cbranch_execz .LBB48_11
.LBB48_16:                              ;   Parent Loop BB48_13 Depth=1
                                        ; =>  This Loop Header: Depth=2
                                        ;       Child Loop BB48_19 Depth 3
	v_lshlrev_b64 v[10:11], 3, v[8:9]
	v_mov_b32_e32 v12, s17
	v_add_co_u32_e32 v10, vcc, s16, v10
	v_addc_co_u32_e32 v11, vcc, v12, v11, vcc
	global_load_dwordx2 v[10:11], v[10:11], off
	s_mov_b64 s[30:31], 0
                                        ; implicit-def: $sgpr24_sgpr25
                                        ; implicit-def: $sgpr26_sgpr27
                                        ; implicit-def: $sgpr28_sgpr29
                                        ; implicit-def: $sgpr34_sgpr35
	s_waitcnt vmcnt(0)
	v_subrev_co_u32_e32 v10, vcc, s33, v10
	v_mul_lo_u32 v12, v10, s9
	v_subb_co_u32_e32 v11, vcc, v11, v22, vcc
	v_and_b32_e32 v12, 0x3ff, v12
	s_branch .LBB48_19
.LBB48_17:                              ;   in Loop: Header=BB48_19 Depth=3
	s_or_b64 exec, exec, s[40:41]
	s_andn2_b64 s[28:29], s[28:29], exec
	s_and_b64 s[34:35], s[38:39], exec
	s_andn2_b64 s[26:27], s[26:27], exec
	s_and_b64 s[0:1], s[0:1], exec
	s_or_b64 s[28:29], s[28:29], s[34:35]
	s_or_b64 s[26:27], s[26:27], s[0:1]
                                        ; implicit-def: $sgpr34_sgpr35
.LBB48_18:                              ;   in Loop: Header=BB48_19 Depth=3
	s_or_b64 exec, exec, s[36:37]
	s_xor_b64 s[0:1], s[26:27], -1
	s_and_b64 s[0:1], exec, s[0:1]
	s_or_b64 s[30:31], s[0:1], s[30:31]
	s_andn2_b64 s[0:1], s[34:35], exec
	s_and_b64 s[36:37], s[28:29], exec
	s_or_b64 s[34:35], s[0:1], s[36:37]
	s_andn2_b64 s[0:1], s[24:25], exec
	s_or_b64 s[24:25], s[0:1], s[36:37]
	s_andn2_b64 exec, exec, s[30:31]
	s_cbranch_execz .LBB48_15
.LBB48_19:                              ;   Parent Loop BB48_13 Depth=1
                                        ;     Parent Loop BB48_16 Depth=2
                                        ; =>    This Inner Loop Header: Depth=3
	v_lshl_add_u32 v23, v12, 3, 0
	ds_read_b64 v[14:15], v23
	s_andn2_b64 s[28:29], s[28:29], exec
	s_andn2_b64 s[26:27], s[26:27], exec
	s_waitcnt lgkmcnt(0)
	v_cmp_ne_u64_e32 vcc, v[14:15], v[10:11]
	s_and_saveexec_b64 s[36:37], vcc
	s_cbranch_execz .LBB48_18
; %bb.20:                               ;   in Loop: Header=BB48_19 Depth=3
	v_cmp_ne_u64_e32 vcc, -1, v[14:15]
                                        ; implicit-def: $sgpr38_sgpr39
                                        ; implicit-def: $sgpr0_sgpr1
	s_and_saveexec_b64 s[40:41], vcc
	s_xor_b64 s[40:41], exec, s[40:41]
; %bb.21:                               ;   in Loop: Header=BB48_19 Depth=3
	v_add_u32_e32 v12, 1, v12
	v_and_b32_e32 v12, 0x3ff, v12
	s_mov_b64 s[0:1], -1
	s_and_b64 s[38:39], s[34:35], exec
                                        ; implicit-def: $vgpr23
; %bb.22:                               ;   in Loop: Header=BB48_19 Depth=3
	s_andn2_saveexec_b64 s[40:41], s[40:41]
	s_cbranch_execz .LBB48_17
; %bb.23:                               ;   in Loop: Header=BB48_19 Depth=3
	v_pk_mov_b32 v[14:15], -1, -1
	ds_cmpst_rtn_b64 v[14:15], v23, v[14:15], v[10:11]
	s_andn2_b64 s[42:43], s[0:1], exec
	s_andn2_b64 s[38:39], s[38:39], exec
	s_waitcnt lgkmcnt(0)
	v_cmp_eq_u64_e64 s[0:1], -1, v[14:15]
	v_cmp_ne_u64_e32 vcc, -1, v[14:15]
	s_or_b64 s[34:35], s[0:1], s[34:35]
	s_and_b64 s[0:1], vcc, exec
	s_and_b64 s[34:35], s[34:35], exec
	s_or_b64 s[0:1], s[42:43], s[0:1]
	s_or_b64 s[38:39], s[38:39], s[34:35]
	s_branch .LBB48_17
.LBB48_24:
	s_or_b64 exec, exec, s[18:19]
.LBB48_25:
	s_or_b64 exec, exec, s[14:15]
.LBB48_26:
	s_load_dword s0, s[4:5], 0x54
	s_waitcnt lgkmcnt(0)
	s_bfe_u32 s0, s0, 0x10008
	s_cmp_eq_u32 s0, 0
	s_mov_b32 s0, 0
	s_cbranch_scc1 .LBB48_40
; %bb.27:
	s_load_dwordx2 s[8:9], s[4:5], 0x30
	s_lshl_b64 s[10:11], s[6:7], 3
	v_subrev_co_u32_e32 v4, vcc, s2, v13
	s_waitcnt lgkmcnt(0)
	s_add_u32 s8, s8, s10
	s_addc_u32 s9, s9, s11
	s_load_dwordx4 s[12:15], s[8:9], 0x0
	v_subb_co_u32_e64 v5, s[8:9], 0, 0, vcc
	s_waitcnt lgkmcnt(0)
	s_sub_u32 s8, s14, s2
	v_mov_b32_e32 v6, s13
	v_add_co_u32_e32 v4, vcc, s12, v4
	s_subb_u32 s9, s15, 0
	v_addc_co_u32_e32 v5, vcc, v5, v6, vcc
	v_cmp_gt_i64_e32 vcc, s[8:9], v[4:5]
	s_and_saveexec_b64 s[10:11], vcc
	s_cbranch_execz .LBB48_39
; %bb.28:
	s_load_dwordx2 s[12:13], s[4:5], 0x38
	s_mov_b64 s[14:15], 0
	v_mov_b32_e32 v9, s0
	s_movk_i32 s3, 0x4f
	s_waitcnt lgkmcnt(0)
	v_mov_b32_e32 v12, s13
	s_branch .LBB48_30
.LBB48_29:                              ;   in Loop: Header=BB48_30 Depth=1
	s_or_b64 exec, exec, s[22:23]
	v_add_co_u32_e32 v4, vcc, 16, v4
	v_addc_co_u32_e32 v5, vcc, 0, v5, vcc
	v_cndmask_b32_e64 v6, 0, 1, s[16:17]
	v_cmp_le_i64_e32 vcc, s[8:9], v[4:5]
	s_or_b64 s[14:15], vcc, s[14:15]
	v_add_co_u32_e32 v2, vcc, v2, v6
	v_addc_co_u32_e32 v3, vcc, 0, v3, vcc
	s_andn2_b64 exec, exec, s[14:15]
	s_cbranch_execz .LBB48_38
.LBB48_30:                              ; =>This Loop Header: Depth=1
                                        ;     Child Loop BB48_33 Depth 2
	v_lshlrev_b64 v[6:7], 3, v[4:5]
	v_add_co_u32_e32 v6, vcc, s12, v6
	v_addc_co_u32_e32 v7, vcc, v12, v7, vcc
	global_load_dwordx2 v[6:7], v[6:7], off
	s_mov_b64 s[22:23], 0
                                        ; implicit-def: $sgpr16_sgpr17
                                        ; implicit-def: $sgpr18_sgpr19
                                        ; implicit-def: $sgpr20_sgpr21
                                        ; implicit-def: $sgpr24_sgpr25
	s_waitcnt vmcnt(0)
	v_subrev_co_u32_e32 v6, vcc, s2, v6
	v_mul_lo_u32 v8, v6, s3
	v_subb_co_u32_e32 v7, vcc, v7, v9, vcc
	v_and_b32_e32 v8, 0x3ff, v8
	s_branch .LBB48_33
.LBB48_31:                              ;   in Loop: Header=BB48_33 Depth=2
	s_or_b64 exec, exec, s[30:31]
	s_andn2_b64 s[20:21], s[20:21], exec
	s_and_b64 s[24:25], s[28:29], exec
	s_andn2_b64 s[18:19], s[18:19], exec
	s_and_b64 s[0:1], s[0:1], exec
	s_or_b64 s[20:21], s[20:21], s[24:25]
	s_or_b64 s[18:19], s[18:19], s[0:1]
                                        ; implicit-def: $sgpr24_sgpr25
.LBB48_32:                              ;   in Loop: Header=BB48_33 Depth=2
	s_or_b64 exec, exec, s[26:27]
	s_xor_b64 s[0:1], s[18:19], -1
	s_and_b64 s[0:1], exec, s[0:1]
	s_or_b64 s[22:23], s[0:1], s[22:23]
	s_andn2_b64 s[0:1], s[24:25], exec
	s_and_b64 s[26:27], s[20:21], exec
	s_or_b64 s[24:25], s[0:1], s[26:27]
	s_andn2_b64 s[0:1], s[16:17], exec
	s_or_b64 s[16:17], s[0:1], s[26:27]
	s_andn2_b64 exec, exec, s[22:23]
	s_cbranch_execz .LBB48_29
.LBB48_33:                              ;   Parent Loop BB48_30 Depth=1
                                        ; =>  This Inner Loop Header: Depth=2
	v_lshl_add_u32 v14, v8, 3, 0
	ds_read_b64 v[10:11], v14
	s_andn2_b64 s[20:21], s[20:21], exec
	s_andn2_b64 s[18:19], s[18:19], exec
	s_waitcnt lgkmcnt(0)
	v_cmp_ne_u64_e32 vcc, v[10:11], v[6:7]
	s_and_saveexec_b64 s[26:27], vcc
	s_cbranch_execz .LBB48_32
; %bb.34:                               ;   in Loop: Header=BB48_33 Depth=2
	v_cmp_ne_u64_e32 vcc, -1, v[10:11]
                                        ; implicit-def: $sgpr28_sgpr29
                                        ; implicit-def: $sgpr0_sgpr1
	s_and_saveexec_b64 s[30:31], vcc
	s_xor_b64 s[30:31], exec, s[30:31]
; %bb.35:                               ;   in Loop: Header=BB48_33 Depth=2
	v_add_u32_e32 v8, 1, v8
	v_and_b32_e32 v8, 0x3ff, v8
	s_mov_b64 s[0:1], -1
	s_and_b64 s[28:29], s[24:25], exec
                                        ; implicit-def: $vgpr14
; %bb.36:                               ;   in Loop: Header=BB48_33 Depth=2
	s_andn2_saveexec_b64 s[30:31], s[30:31]
	s_cbranch_execz .LBB48_31
; %bb.37:                               ;   in Loop: Header=BB48_33 Depth=2
	v_pk_mov_b32 v[10:11], -1, -1
	ds_cmpst_rtn_b64 v[10:11], v14, v[10:11], v[6:7]
	s_andn2_b64 s[34:35], s[0:1], exec
	s_andn2_b64 s[28:29], s[28:29], exec
	s_waitcnt lgkmcnt(0)
	v_cmp_eq_u64_e64 s[0:1], -1, v[10:11]
	v_cmp_ne_u64_e32 vcc, -1, v[10:11]
	s_or_b64 s[24:25], s[0:1], s[24:25]
	s_and_b64 s[0:1], vcc, exec
	s_and_b64 s[24:25], s[24:25], exec
	s_or_b64 s[0:1], s[34:35], s[0:1]
	s_or_b64 s[28:29], s[28:29], s[24:25]
	s_branch .LBB48_31
.LBB48_38:
	s_or_b64 exec, exec, s[14:15]
.LBB48_39:
	s_or_b64 exec, exec, s[10:11]
.LBB48_40:
	v_mov_b32_dpp v4, v2 row_shr:1 row_mask:0xf bank_mask:0xf
	v_add_co_u32_e32 v2, vcc, v2, v4
	v_mov_b32_dpp v5, v3 row_shr:1 row_mask:0xf bank_mask:0xf
	v_addc_co_u32_e32 v3, vcc, 0, v3, vcc
	v_add_co_u32_e32 v4, vcc, 0, v2
	v_addc_co_u32_e32 v3, vcc, v5, v3, vcc
	v_mov_b32_dpp v2, v2 row_shr:2 row_mask:0xf bank_mask:0xf
	v_add_co_u32_e32 v4, vcc, v4, v2
	v_mov_b32_dpp v5, v3 row_shr:2 row_mask:0xf bank_mask:0xf
	v_addc_co_u32_e32 v3, vcc, 0, v3, vcc
	v_add_co_u32_e32 v2, vcc, 0, v4
	v_addc_co_u32_e32 v3, vcc, v3, v5, vcc
	v_mov_b32_dpp v4, v4 row_shr:4 row_mask:0xf bank_mask:0xe
	s_nop 0
	v_mov_b32_dpp v5, v3 row_shr:4 row_mask:0xf bank_mask:0xe
	v_cmp_eq_u32_e32 vcc, 7, v16
	s_barrier
	s_and_saveexec_b64 s[0:1], vcc
	s_cbranch_execz .LBB48_42
; %bb.41:
	v_add_co_u32_e32 v2, vcc, v4, v2
	v_lshl_add_u32 v6, v13, 3, 0
	v_addc_co_u32_e32 v3, vcc, v5, v3, vcc
	ds_write_b64 v6, v[2:3]
.LBB48_42:
	s_or_b64 exec, exec, s[0:1]
	v_cmp_gt_u32_e32 vcc, 16, v0
	v_pk_mov_b32 v[2:3], 0, 0
	s_waitcnt lgkmcnt(0)
	s_barrier
	s_and_saveexec_b64 s[0:1], vcc
	s_cbranch_execz .LBB48_44
; %bb.43:
	ds_read_b64 v[2:3], v1
.LBB48_44:
	s_or_b64 exec, exec, s[0:1]
	s_waitcnt lgkmcnt(0)
	v_mov_b32_dpp v1, v2 row_shr:1 row_mask:0xf bank_mask:0xf
	v_add_co_u32_e32 v1, vcc, v2, v1
	v_addc_co_u32_e32 v2, vcc, 0, v3, vcc
	v_mov_b32_dpp v4, v3 row_shr:1 row_mask:0xf bank_mask:0xf
	v_add_co_u32_e32 v3, vcc, 0, v1
	v_addc_co_u32_e32 v2, vcc, v4, v2, vcc
	v_mov_b32_dpp v1, v1 row_shr:2 row_mask:0xf bank_mask:0xf
	v_add_co_u32_e32 v1, vcc, v3, v1
	v_mov_b32_dpp v4, v2 row_shr:2 row_mask:0xf bank_mask:0xf
	v_addc_co_u32_e32 v2, vcc, 0, v2, vcc
	v_add_co_u32_e32 v3, vcc, 0, v1
	v_addc_co_u32_e32 v2, vcc, v2, v4, vcc
	v_mov_b32_dpp v1, v1 row_shr:4 row_mask:0xf bank_mask:0xe
	s_nop 0
	v_mov_b32_dpp v4, v2 row_shr:4 row_mask:0xf bank_mask:0xe
	v_add_co_u32_e32 v1, vcc, v1, v3
	v_addc_co_u32_e32 v2, vcc, v4, v2, vcc
	s_nop 0
	v_mov_b32_dpp v3, v1 row_shr:8 row_mask:0xf bank_mask:0xc
	v_mov_b32_dpp v4, v2 row_shr:8 row_mask:0xf bank_mask:0xc
	v_cmp_eq_u32_e32 vcc, 15, v0
	s_and_saveexec_b64 s[0:1], vcc
	s_cbranch_execz .LBB48_46
; %bb.45:
	s_load_dwordx2 s[0:1], s[4:5], 0x40
	s_lshl_b64 s[2:3], s[6:7], 3
	v_add_co_u32_e32 v0, vcc, v3, v1
	v_mov_b32_e32 v5, 0
	s_waitcnt lgkmcnt(0)
	s_add_u32 s0, s0, s2
	s_addc_u32 s1, s1, s3
	v_addc_co_u32_e32 v1, vcc, v4, v2, vcc
	global_store_dwordx2 v5, v[0:1], s[0:1]
.LBB48_46:
	s_endpgm
	.section	.rodata,"a",@progbits
	.p2align	6, 0x0
	.amdhsa_kernel _ZN9rocsparseL25csrgemm_nnz_block_per_rowILj128ELj8ELj1024ELj79EllEEvPKT4_S3_PKT3_S3_S6_S3_S6_S3_PS4_21rocsparse_index_base_S8_S8_bb
		.amdhsa_group_segment_fixed_size 0
		.amdhsa_private_segment_fixed_size 0
		.amdhsa_kernarg_size 88
		.amdhsa_user_sgpr_count 6
		.amdhsa_user_sgpr_private_segment_buffer 1
		.amdhsa_user_sgpr_dispatch_ptr 0
		.amdhsa_user_sgpr_queue_ptr 0
		.amdhsa_user_sgpr_kernarg_segment_ptr 1
		.amdhsa_user_sgpr_dispatch_id 0
		.amdhsa_user_sgpr_flat_scratch_init 0
		.amdhsa_user_sgpr_kernarg_preload_length 0
		.amdhsa_user_sgpr_kernarg_preload_offset 0
		.amdhsa_user_sgpr_private_segment_size 0
		.amdhsa_uses_dynamic_stack 0
		.amdhsa_system_sgpr_private_segment_wavefront_offset 0
		.amdhsa_system_sgpr_workgroup_id_x 1
		.amdhsa_system_sgpr_workgroup_id_y 0
		.amdhsa_system_sgpr_workgroup_id_z 0
		.amdhsa_system_sgpr_workgroup_info 0
		.amdhsa_system_vgpr_workitem_id 0
		.amdhsa_next_free_vgpr 24
		.amdhsa_next_free_sgpr 44
		.amdhsa_accum_offset 24
		.amdhsa_reserve_vcc 1
		.amdhsa_reserve_flat_scratch 0
		.amdhsa_float_round_mode_32 0
		.amdhsa_float_round_mode_16_64 0
		.amdhsa_float_denorm_mode_32 3
		.amdhsa_float_denorm_mode_16_64 3
		.amdhsa_dx10_clamp 1
		.amdhsa_ieee_mode 1
		.amdhsa_fp16_overflow 0
		.amdhsa_tg_split 0
		.amdhsa_exception_fp_ieee_invalid_op 0
		.amdhsa_exception_fp_denorm_src 0
		.amdhsa_exception_fp_ieee_div_zero 0
		.amdhsa_exception_fp_ieee_overflow 0
		.amdhsa_exception_fp_ieee_underflow 0
		.amdhsa_exception_fp_ieee_inexact 0
		.amdhsa_exception_int_div_zero 0
	.end_amdhsa_kernel
	.section	.text._ZN9rocsparseL25csrgemm_nnz_block_per_rowILj128ELj8ELj1024ELj79EllEEvPKT4_S3_PKT3_S3_S6_S3_S6_S3_PS4_21rocsparse_index_base_S8_S8_bb,"axG",@progbits,_ZN9rocsparseL25csrgemm_nnz_block_per_rowILj128ELj8ELj1024ELj79EllEEvPKT4_S3_PKT3_S3_S6_S3_S6_S3_PS4_21rocsparse_index_base_S8_S8_bb,comdat
.Lfunc_end48:
	.size	_ZN9rocsparseL25csrgemm_nnz_block_per_rowILj128ELj8ELj1024ELj79EllEEvPKT4_S3_PKT3_S3_S6_S3_S6_S3_PS4_21rocsparse_index_base_S8_S8_bb, .Lfunc_end48-_ZN9rocsparseL25csrgemm_nnz_block_per_rowILj128ELj8ELj1024ELj79EllEEvPKT4_S3_PKT3_S3_S6_S3_S6_S3_PS4_21rocsparse_index_base_S8_S8_bb
                                        ; -- End function
	.section	.AMDGPU.csdata,"",@progbits
; Kernel info:
; codeLenInByte = 1800
; NumSgprs: 48
; NumVgprs: 24
; NumAgprs: 0
; TotalNumVgprs: 24
; ScratchSize: 0
; MemoryBound: 0
; FloatMode: 240
; IeeeMode: 1
; LDSByteSize: 0 bytes/workgroup (compile time only)
; SGPRBlocks: 5
; VGPRBlocks: 2
; NumSGPRsForWavesPerEU: 48
; NumVGPRsForWavesPerEU: 24
; AccumOffset: 24
; Occupancy: 8
; WaveLimiterHint : 1
; COMPUTE_PGM_RSRC2:SCRATCH_EN: 0
; COMPUTE_PGM_RSRC2:USER_SGPR: 6
; COMPUTE_PGM_RSRC2:TRAP_HANDLER: 0
; COMPUTE_PGM_RSRC2:TGID_X_EN: 1
; COMPUTE_PGM_RSRC2:TGID_Y_EN: 0
; COMPUTE_PGM_RSRC2:TGID_Z_EN: 0
; COMPUTE_PGM_RSRC2:TIDIG_COMP_CNT: 0
; COMPUTE_PGM_RSRC3_GFX90A:ACCUM_OFFSET: 5
; COMPUTE_PGM_RSRC3_GFX90A:TG_SPLIT: 0
	.section	.text._ZN9rocsparseL25csrgemm_nnz_block_per_rowILj256ELj16ELj2048ELj79EllEEvPKT4_S3_PKT3_S3_S6_S3_S6_S3_PS4_21rocsparse_index_base_S8_S8_bb,"axG",@progbits,_ZN9rocsparseL25csrgemm_nnz_block_per_rowILj256ELj16ELj2048ELj79EllEEvPKT4_S3_PKT3_S3_S6_S3_S6_S3_PS4_21rocsparse_index_base_S8_S8_bb,comdat
	.globl	_ZN9rocsparseL25csrgemm_nnz_block_per_rowILj256ELj16ELj2048ELj79EllEEvPKT4_S3_PKT3_S3_S6_S3_S6_S3_PS4_21rocsparse_index_base_S8_S8_bb ; -- Begin function _ZN9rocsparseL25csrgemm_nnz_block_per_rowILj256ELj16ELj2048ELj79EllEEvPKT4_S3_PKT3_S3_S6_S3_S6_S3_PS4_21rocsparse_index_base_S8_S8_bb
	.p2align	8
	.type	_ZN9rocsparseL25csrgemm_nnz_block_per_rowILj256ELj16ELj2048ELj79EllEEvPKT4_S3_PKT3_S3_S6_S3_S6_S3_PS4_21rocsparse_index_base_S8_S8_bb,@function
_ZN9rocsparseL25csrgemm_nnz_block_per_rowILj256ELj16ELj2048ELj79EllEEvPKT4_S3_PKT3_S3_S6_S3_S6_S3_PS4_21rocsparse_index_base_S8_S8_bb: ; @_ZN9rocsparseL25csrgemm_nnz_block_per_rowILj256ELj16ELj2048ELj79EllEEvPKT4_S3_PKT3_S3_S6_S3_S6_S3_PS4_21rocsparse_index_base_S8_S8_bb
; %bb.0:
	s_load_dwordx4 s[0:3], s[4:5], 0x0
	s_mov_b32 s7, 0
	s_mov_b32 s8, -1
	s_mov_b32 s9, s8
	v_or_b32_e32 v4, 0x400, v0
	s_waitcnt lgkmcnt(0)
	s_load_dwordx2 s[0:1], s[0:1], 0x0
	v_lshl_add_u32 v1, v0, 3, 0
	v_pk_mov_b32 v[2:3], s[8:9], s[8:9] op_sel:[0,1]
	s_waitcnt lgkmcnt(0)
	s_lshl_b64 s[0:1], s[0:1], 3
	s_add_u32 s2, s2, s0
	s_addc_u32 s3, s3, s1
	s_lshl_b64 s[0:1], s[6:7], 3
	s_add_u32 s0, s2, s0
	s_addc_u32 s1, s3, s1
	s_load_dwordx2 s[6:7], s[0:1], 0x0
	s_movk_i32 s0, 0x700
	v_cmp_gt_u32_e32 vcc, s0, v4
	ds_write2st64_b64 v1, v[2:3], v[2:3] offset1:4
	ds_write2st64_b64 v1, v[2:3], v[2:3] offset0:8 offset1:12
	ds_write_b64 v1, v[2:3] offset:8192
	s_and_saveexec_b64 s[0:1], vcc
	s_cbranch_execz .LBB49_4
; %bb.1:
	v_mov_b32_e32 v2, -1
	s_movk_i32 s2, 0x200
	v_mov_b32_e32 v3, v2
	v_cmp_gt_u32_e32 vcc, s2, v0
	ds_write_b64 v1, v[2:3] offset:10240
	s_and_saveexec_b64 s[2:3], vcc
	s_xor_b64 s[2:3], exec, s[2:3]
	s_cbranch_execz .LBB49_4
; %bb.2:
	s_movk_i32 s2, 0x100
	v_cmp_gt_u32_e32 vcc, s2, v0
	ds_write_b64 v1, v[2:3] offset:12288
	s_and_saveexec_b64 s[2:3], vcc
	s_xor_b64 s[2:3], exec, s[2:3]
	s_cbranch_execz .LBB49_4
; %bb.3:
	v_mov_b32_e32 v2, -1
	v_mov_b32_e32 v3, v2
	ds_write_b64 v1, v[2:3] offset:14336
.LBB49_4:
	s_or_b64 exec, exec, s[0:1]
	s_load_dwordx4 s[0:3], s[4:5], 0x48
	v_and_b32_e32 v16, 15, v0
	v_lshrrev_b32_e32 v13, 4, v0
	v_pk_mov_b32 v[2:3], 0, 0
	s_waitcnt lgkmcnt(0)
	s_bitcmp1_b32 s3, 0
	s_cselect_b64 s[8:9], -1, 0
	s_and_b64 vcc, exec, s[8:9]
	s_barrier
	s_cbranch_vccz .LBB49_22
; %bb.5:
	s_load_dwordx2 s[8:9], s[4:5], 0x10
	s_lshl_b64 s[10:11], s[6:7], 3
	v_subrev_co_u32_e32 v2, vcc, s0, v13
	v_subb_co_u32_e64 v3, s[12:13], 0, 0, vcc
	s_waitcnt lgkmcnt(0)
	s_add_u32 s8, s8, s10
	s_addc_u32 s9, s9, s11
	s_load_dwordx4 s[8:11], s[8:9], 0x0
	s_mov_b32 s20, 0
	s_waitcnt lgkmcnt(0)
	s_sub_u32 s12, s10, s0
	v_mov_b32_e32 v5, s9
	v_add_co_u32_e32 v4, vcc, s8, v2
	s_subb_u32 s13, s11, 0
	v_addc_co_u32_e32 v5, vcc, v3, v5, vcc
	v_cmp_gt_i64_e32 vcc, s[12:13], v[4:5]
	v_pk_mov_b32 v[2:3], 0, 0
	s_and_saveexec_b64 s[14:15], vcc
	s_cbranch_execz .LBB49_21
; %bb.6:
	s_load_dwordx4 s[8:11], s[4:5], 0x18
	s_load_dwordx2 s[16:17], s[4:5], 0x28
	v_subrev_co_u32_e32 v17, vcc, s1, v16
	s_mov_b32 s3, s0
	s_mov_b32 s33, s1
	v_subb_co_u32_e64 v18, s[0:1], 0, 0, vcc
	s_mov_b64 s[18:19], 0
	v_pk_mov_b32 v[2:3], 0, 0
	s_waitcnt lgkmcnt(0)
	v_mov_b32_e32 v19, s9
	v_mov_b32_e32 v20, s20
	;; [unrolled: 1-line block ×4, first 2 shown]
	s_movk_i32 s9, 0x4f
	s_branch .LBB49_9
.LBB49_7:                               ;   in Loop: Header=BB49_9 Depth=1
	s_or_b64 exec, exec, s[22:23]
.LBB49_8:                               ;   in Loop: Header=BB49_9 Depth=1
	s_or_b64 exec, exec, s[20:21]
	v_add_co_u32_e32 v4, vcc, 16, v4
	v_addc_co_u32_e32 v5, vcc, 0, v5, vcc
	v_cmp_le_i64_e32 vcc, s[12:13], v[4:5]
	s_or_b64 s[18:19], vcc, s[18:19]
	s_andn2_b64 exec, exec, s[18:19]
	s_cbranch_execz .LBB49_20
.LBB49_9:                               ; =>This Loop Header: Depth=1
                                        ;     Child Loop BB49_12 Depth 2
                                        ;       Child Loop BB49_15 Depth 3
	v_lshlrev_b64 v[6:7], 3, v[4:5]
	v_add_co_u32_e32 v6, vcc, s8, v6
	v_addc_co_u32_e32 v7, vcc, v19, v7, vcc
	global_load_dwordx2 v[6:7], v[6:7], off
	s_waitcnt vmcnt(0)
	v_subrev_co_u32_e32 v6, vcc, s3, v6
	v_subb_co_u32_e32 v7, vcc, v7, v20, vcc
	v_lshlrev_b64 v[6:7], 3, v[6:7]
	v_add_co_u32_e32 v6, vcc, s10, v6
	v_addc_co_u32_e32 v7, vcc, v21, v7, vcc
	global_load_dwordx4 v[8:11], v[6:7], off
	s_waitcnt vmcnt(0)
	v_subrev_co_u32_e32 v6, vcc, s33, v10
	v_subb_co_u32_e32 v7, vcc, v11, v22, vcc
	v_add_co_u32_e32 v8, vcc, v17, v8
	v_addc_co_u32_e32 v9, vcc, v18, v9, vcc
	v_cmp_lt_i64_e32 vcc, v[8:9], v[6:7]
	s_and_saveexec_b64 s[20:21], vcc
	s_cbranch_execz .LBB49_8
; %bb.10:                               ;   in Loop: Header=BB49_9 Depth=1
	s_mov_b64 s[22:23], 0
	s_branch .LBB49_12
.LBB49_11:                              ;   in Loop: Header=BB49_12 Depth=2
	s_or_b64 exec, exec, s[30:31]
	v_add_co_u32_e32 v8, vcc, 16, v8
	v_addc_co_u32_e32 v9, vcc, 0, v9, vcc
	v_cndmask_b32_e64 v10, 0, 1, s[24:25]
	v_cmp_ge_i64_e32 vcc, v[8:9], v[6:7]
	s_or_b64 s[22:23], vcc, s[22:23]
	v_add_co_u32_e32 v2, vcc, v2, v10
	v_addc_co_u32_e32 v3, vcc, 0, v3, vcc
	s_andn2_b64 exec, exec, s[22:23]
	s_cbranch_execz .LBB49_7
.LBB49_12:                              ;   Parent Loop BB49_9 Depth=1
                                        ; =>  This Loop Header: Depth=2
                                        ;       Child Loop BB49_15 Depth 3
	v_lshlrev_b64 v[10:11], 3, v[8:9]
	v_mov_b32_e32 v12, s17
	v_add_co_u32_e32 v10, vcc, s16, v10
	v_addc_co_u32_e32 v11, vcc, v12, v11, vcc
	global_load_dwordx2 v[10:11], v[10:11], off
	s_mov_b64 s[30:31], 0
                                        ; implicit-def: $sgpr24_sgpr25
                                        ; implicit-def: $sgpr26_sgpr27
                                        ; implicit-def: $sgpr28_sgpr29
                                        ; implicit-def: $sgpr34_sgpr35
	s_waitcnt vmcnt(0)
	v_subrev_co_u32_e32 v10, vcc, s33, v10
	v_mul_lo_u32 v12, v10, s9
	v_subb_co_u32_e32 v11, vcc, v11, v22, vcc
	v_and_b32_e32 v12, 0x7ff, v12
	s_branch .LBB49_15
.LBB49_13:                              ;   in Loop: Header=BB49_15 Depth=3
	s_or_b64 exec, exec, s[40:41]
	s_andn2_b64 s[28:29], s[28:29], exec
	s_and_b64 s[34:35], s[38:39], exec
	s_andn2_b64 s[26:27], s[26:27], exec
	s_and_b64 s[0:1], s[0:1], exec
	s_or_b64 s[28:29], s[28:29], s[34:35]
	s_or_b64 s[26:27], s[26:27], s[0:1]
                                        ; implicit-def: $sgpr34_sgpr35
.LBB49_14:                              ;   in Loop: Header=BB49_15 Depth=3
	s_or_b64 exec, exec, s[36:37]
	s_xor_b64 s[0:1], s[26:27], -1
	s_and_b64 s[0:1], exec, s[0:1]
	s_or_b64 s[30:31], s[0:1], s[30:31]
	s_andn2_b64 s[0:1], s[34:35], exec
	s_and_b64 s[36:37], s[28:29], exec
	s_or_b64 s[34:35], s[0:1], s[36:37]
	s_andn2_b64 s[0:1], s[24:25], exec
	s_or_b64 s[24:25], s[0:1], s[36:37]
	s_andn2_b64 exec, exec, s[30:31]
	s_cbranch_execz .LBB49_11
.LBB49_15:                              ;   Parent Loop BB49_9 Depth=1
                                        ;     Parent Loop BB49_12 Depth=2
                                        ; =>    This Inner Loop Header: Depth=3
	v_lshl_add_u32 v23, v12, 3, 0
	ds_read_b64 v[14:15], v23
	s_andn2_b64 s[28:29], s[28:29], exec
	s_andn2_b64 s[26:27], s[26:27], exec
	s_waitcnt lgkmcnt(0)
	v_cmp_ne_u64_e32 vcc, v[14:15], v[10:11]
	s_and_saveexec_b64 s[36:37], vcc
	s_cbranch_execz .LBB49_14
; %bb.16:                               ;   in Loop: Header=BB49_15 Depth=3
	v_cmp_ne_u64_e32 vcc, -1, v[14:15]
                                        ; implicit-def: $sgpr38_sgpr39
                                        ; implicit-def: $sgpr0_sgpr1
	s_and_saveexec_b64 s[40:41], vcc
	s_xor_b64 s[40:41], exec, s[40:41]
; %bb.17:                               ;   in Loop: Header=BB49_15 Depth=3
	v_add_u32_e32 v12, 1, v12
	v_and_b32_e32 v12, 0x7ff, v12
	s_mov_b64 s[0:1], -1
	s_and_b64 s[38:39], s[34:35], exec
                                        ; implicit-def: $vgpr23
; %bb.18:                               ;   in Loop: Header=BB49_15 Depth=3
	s_andn2_saveexec_b64 s[40:41], s[40:41]
	s_cbranch_execz .LBB49_13
; %bb.19:                               ;   in Loop: Header=BB49_15 Depth=3
	v_pk_mov_b32 v[14:15], -1, -1
	ds_cmpst_rtn_b64 v[14:15], v23, v[14:15], v[10:11]
	s_andn2_b64 s[42:43], s[0:1], exec
	s_andn2_b64 s[38:39], s[38:39], exec
	s_waitcnt lgkmcnt(0)
	v_cmp_eq_u64_e64 s[0:1], -1, v[14:15]
	v_cmp_ne_u64_e32 vcc, -1, v[14:15]
	s_or_b64 s[34:35], s[0:1], s[34:35]
	s_and_b64 s[0:1], vcc, exec
	s_and_b64 s[34:35], s[34:35], exec
	s_or_b64 s[0:1], s[42:43], s[0:1]
	s_or_b64 s[38:39], s[38:39], s[34:35]
	s_branch .LBB49_13
.LBB49_20:
	s_or_b64 exec, exec, s[18:19]
.LBB49_21:
	s_or_b64 exec, exec, s[14:15]
.LBB49_22:
	s_load_dword s0, s[4:5], 0x54
	s_waitcnt lgkmcnt(0)
	s_bfe_u32 s0, s0, 0x10008
	s_cmp_eq_u32 s0, 0
	s_mov_b32 s0, 0
	s_cbranch_scc1 .LBB49_36
; %bb.23:
	s_load_dwordx2 s[8:9], s[4:5], 0x30
	s_lshl_b64 s[10:11], s[6:7], 3
	v_subrev_co_u32_e32 v4, vcc, s2, v13
	s_waitcnt lgkmcnt(0)
	s_add_u32 s8, s8, s10
	s_addc_u32 s9, s9, s11
	s_load_dwordx4 s[12:15], s[8:9], 0x0
	v_subb_co_u32_e64 v5, s[8:9], 0, 0, vcc
	s_waitcnt lgkmcnt(0)
	s_sub_u32 s8, s14, s2
	v_mov_b32_e32 v6, s13
	v_add_co_u32_e32 v4, vcc, s12, v4
	s_subb_u32 s9, s15, 0
	v_addc_co_u32_e32 v5, vcc, v5, v6, vcc
	v_cmp_gt_i64_e32 vcc, s[8:9], v[4:5]
	s_and_saveexec_b64 s[10:11], vcc
	s_cbranch_execz .LBB49_35
; %bb.24:
	s_load_dwordx2 s[12:13], s[4:5], 0x38
	s_mov_b64 s[14:15], 0
	v_mov_b32_e32 v9, s0
	s_movk_i32 s3, 0x4f
	s_waitcnt lgkmcnt(0)
	v_mov_b32_e32 v12, s13
	s_branch .LBB49_26
.LBB49_25:                              ;   in Loop: Header=BB49_26 Depth=1
	s_or_b64 exec, exec, s[22:23]
	v_add_co_u32_e32 v4, vcc, 16, v4
	v_addc_co_u32_e32 v5, vcc, 0, v5, vcc
	v_cndmask_b32_e64 v6, 0, 1, s[16:17]
	v_cmp_le_i64_e32 vcc, s[8:9], v[4:5]
	s_or_b64 s[14:15], vcc, s[14:15]
	v_add_co_u32_e32 v2, vcc, v2, v6
	v_addc_co_u32_e32 v3, vcc, 0, v3, vcc
	s_andn2_b64 exec, exec, s[14:15]
	s_cbranch_execz .LBB49_34
.LBB49_26:                              ; =>This Loop Header: Depth=1
                                        ;     Child Loop BB49_29 Depth 2
	v_lshlrev_b64 v[6:7], 3, v[4:5]
	v_add_co_u32_e32 v6, vcc, s12, v6
	v_addc_co_u32_e32 v7, vcc, v12, v7, vcc
	global_load_dwordx2 v[6:7], v[6:7], off
	s_mov_b64 s[22:23], 0
                                        ; implicit-def: $sgpr16_sgpr17
                                        ; implicit-def: $sgpr18_sgpr19
                                        ; implicit-def: $sgpr20_sgpr21
                                        ; implicit-def: $sgpr24_sgpr25
	s_waitcnt vmcnt(0)
	v_subrev_co_u32_e32 v6, vcc, s2, v6
	v_mul_lo_u32 v8, v6, s3
	v_subb_co_u32_e32 v7, vcc, v7, v9, vcc
	v_and_b32_e32 v8, 0x7ff, v8
	s_branch .LBB49_29
.LBB49_27:                              ;   in Loop: Header=BB49_29 Depth=2
	s_or_b64 exec, exec, s[30:31]
	s_andn2_b64 s[20:21], s[20:21], exec
	s_and_b64 s[24:25], s[28:29], exec
	s_andn2_b64 s[18:19], s[18:19], exec
	s_and_b64 s[0:1], s[0:1], exec
	s_or_b64 s[20:21], s[20:21], s[24:25]
	s_or_b64 s[18:19], s[18:19], s[0:1]
                                        ; implicit-def: $sgpr24_sgpr25
.LBB49_28:                              ;   in Loop: Header=BB49_29 Depth=2
	s_or_b64 exec, exec, s[26:27]
	s_xor_b64 s[0:1], s[18:19], -1
	s_and_b64 s[0:1], exec, s[0:1]
	s_or_b64 s[22:23], s[0:1], s[22:23]
	s_andn2_b64 s[0:1], s[24:25], exec
	s_and_b64 s[26:27], s[20:21], exec
	s_or_b64 s[24:25], s[0:1], s[26:27]
	s_andn2_b64 s[0:1], s[16:17], exec
	s_or_b64 s[16:17], s[0:1], s[26:27]
	s_andn2_b64 exec, exec, s[22:23]
	s_cbranch_execz .LBB49_25
.LBB49_29:                              ;   Parent Loop BB49_26 Depth=1
                                        ; =>  This Inner Loop Header: Depth=2
	v_lshl_add_u32 v14, v8, 3, 0
	ds_read_b64 v[10:11], v14
	s_andn2_b64 s[20:21], s[20:21], exec
	s_andn2_b64 s[18:19], s[18:19], exec
	s_waitcnt lgkmcnt(0)
	v_cmp_ne_u64_e32 vcc, v[10:11], v[6:7]
	s_and_saveexec_b64 s[26:27], vcc
	s_cbranch_execz .LBB49_28
; %bb.30:                               ;   in Loop: Header=BB49_29 Depth=2
	v_cmp_ne_u64_e32 vcc, -1, v[10:11]
                                        ; implicit-def: $sgpr28_sgpr29
                                        ; implicit-def: $sgpr0_sgpr1
	s_and_saveexec_b64 s[30:31], vcc
	s_xor_b64 s[30:31], exec, s[30:31]
; %bb.31:                               ;   in Loop: Header=BB49_29 Depth=2
	v_add_u32_e32 v8, 1, v8
	v_and_b32_e32 v8, 0x7ff, v8
	s_mov_b64 s[0:1], -1
	s_and_b64 s[28:29], s[24:25], exec
                                        ; implicit-def: $vgpr14
; %bb.32:                               ;   in Loop: Header=BB49_29 Depth=2
	s_andn2_saveexec_b64 s[30:31], s[30:31]
	s_cbranch_execz .LBB49_27
; %bb.33:                               ;   in Loop: Header=BB49_29 Depth=2
	v_pk_mov_b32 v[10:11], -1, -1
	ds_cmpst_rtn_b64 v[10:11], v14, v[10:11], v[6:7]
	s_andn2_b64 s[34:35], s[0:1], exec
	s_andn2_b64 s[28:29], s[28:29], exec
	s_waitcnt lgkmcnt(0)
	v_cmp_eq_u64_e64 s[0:1], -1, v[10:11]
	v_cmp_ne_u64_e32 vcc, -1, v[10:11]
	s_or_b64 s[24:25], s[0:1], s[24:25]
	s_and_b64 s[0:1], vcc, exec
	s_and_b64 s[24:25], s[24:25], exec
	s_or_b64 s[0:1], s[34:35], s[0:1]
	s_or_b64 s[28:29], s[28:29], s[24:25]
	s_branch .LBB49_27
.LBB49_34:
	s_or_b64 exec, exec, s[14:15]
.LBB49_35:
	s_or_b64 exec, exec, s[10:11]
.LBB49_36:
	v_mov_b32_dpp v4, v2 row_shr:1 row_mask:0xf bank_mask:0xf
	v_add_co_u32_e32 v2, vcc, v2, v4
	v_mov_b32_dpp v5, v3 row_shr:1 row_mask:0xf bank_mask:0xf
	v_addc_co_u32_e32 v3, vcc, 0, v3, vcc
	v_add_co_u32_e32 v4, vcc, 0, v2
	v_addc_co_u32_e32 v3, vcc, v5, v3, vcc
	v_mov_b32_dpp v2, v2 row_shr:2 row_mask:0xf bank_mask:0xf
	v_add_co_u32_e32 v2, vcc, v4, v2
	v_mov_b32_dpp v5, v3 row_shr:2 row_mask:0xf bank_mask:0xf
	v_addc_co_u32_e32 v3, vcc, 0, v3, vcc
	v_add_co_u32_e32 v4, vcc, 0, v2
	v_addc_co_u32_e32 v3, vcc, v3, v5, vcc
	v_mov_b32_dpp v2, v2 row_shr:4 row_mask:0xf bank_mask:0xe
	s_nop 0
	v_mov_b32_dpp v5, v3 row_shr:4 row_mask:0xf bank_mask:0xe
	v_add_co_u32_e32 v2, vcc, v2, v4
	v_addc_co_u32_e32 v3, vcc, v5, v3, vcc
	s_nop 0
	v_mov_b32_dpp v4, v2 row_shr:8 row_mask:0xf bank_mask:0xc
	v_mov_b32_dpp v5, v3 row_shr:8 row_mask:0xf bank_mask:0xc
	v_cmp_eq_u32_e32 vcc, 15, v16
	s_barrier
	s_and_saveexec_b64 s[0:1], vcc
	s_cbranch_execz .LBB49_38
; %bb.37:
	v_add_co_u32_e32 v2, vcc, v4, v2
	v_lshl_add_u32 v6, v13, 3, 0
	v_addc_co_u32_e32 v3, vcc, v5, v3, vcc
	ds_write_b64 v6, v[2:3]
.LBB49_38:
	s_or_b64 exec, exec, s[0:1]
	v_cmp_gt_u32_e32 vcc, 16, v0
	v_pk_mov_b32 v[2:3], 0, 0
	s_waitcnt lgkmcnt(0)
	s_barrier
	s_and_saveexec_b64 s[0:1], vcc
	s_cbranch_execz .LBB49_40
; %bb.39:
	ds_read_b64 v[2:3], v1
.LBB49_40:
	s_or_b64 exec, exec, s[0:1]
	s_waitcnt lgkmcnt(0)
	v_mov_b32_dpp v1, v2 row_shr:1 row_mask:0xf bank_mask:0xf
	v_add_co_u32_e32 v1, vcc, v2, v1
	v_addc_co_u32_e32 v2, vcc, 0, v3, vcc
	v_mov_b32_dpp v4, v3 row_shr:1 row_mask:0xf bank_mask:0xf
	v_add_co_u32_e32 v3, vcc, 0, v1
	v_addc_co_u32_e32 v2, vcc, v4, v2, vcc
	v_mov_b32_dpp v1, v1 row_shr:2 row_mask:0xf bank_mask:0xf
	v_add_co_u32_e32 v1, vcc, v3, v1
	v_mov_b32_dpp v4, v2 row_shr:2 row_mask:0xf bank_mask:0xf
	v_addc_co_u32_e32 v2, vcc, 0, v2, vcc
	v_add_co_u32_e32 v3, vcc, 0, v1
	v_addc_co_u32_e32 v2, vcc, v2, v4, vcc
	v_mov_b32_dpp v1, v1 row_shr:4 row_mask:0xf bank_mask:0xe
	s_nop 0
	v_mov_b32_dpp v4, v2 row_shr:4 row_mask:0xf bank_mask:0xe
	v_add_co_u32_e32 v1, vcc, v1, v3
	v_addc_co_u32_e32 v2, vcc, v4, v2, vcc
	s_nop 0
	v_mov_b32_dpp v3, v1 row_shr:8 row_mask:0xf bank_mask:0xc
	v_mov_b32_dpp v4, v2 row_shr:8 row_mask:0xf bank_mask:0xc
	v_cmp_eq_u32_e32 vcc, 15, v0
	s_and_saveexec_b64 s[0:1], vcc
	s_cbranch_execz .LBB49_42
; %bb.41:
	s_load_dwordx2 s[0:1], s[4:5], 0x40
	s_lshl_b64 s[2:3], s[6:7], 3
	v_add_co_u32_e32 v0, vcc, v3, v1
	v_mov_b32_e32 v5, 0
	s_waitcnt lgkmcnt(0)
	s_add_u32 s0, s0, s2
	s_addc_u32 s1, s1, s3
	v_addc_co_u32_e32 v1, vcc, v4, v2, vcc
	global_store_dwordx2 v5, v[0:1], s[0:1]
.LBB49_42:
	s_endpgm
	.section	.rodata,"a",@progbits
	.p2align	6, 0x0
	.amdhsa_kernel _ZN9rocsparseL25csrgemm_nnz_block_per_rowILj256ELj16ELj2048ELj79EllEEvPKT4_S3_PKT3_S3_S6_S3_S6_S3_PS4_21rocsparse_index_base_S8_S8_bb
		.amdhsa_group_segment_fixed_size 0
		.amdhsa_private_segment_fixed_size 0
		.amdhsa_kernarg_size 88
		.amdhsa_user_sgpr_count 6
		.amdhsa_user_sgpr_private_segment_buffer 1
		.amdhsa_user_sgpr_dispatch_ptr 0
		.amdhsa_user_sgpr_queue_ptr 0
		.amdhsa_user_sgpr_kernarg_segment_ptr 1
		.amdhsa_user_sgpr_dispatch_id 0
		.amdhsa_user_sgpr_flat_scratch_init 0
		.amdhsa_user_sgpr_kernarg_preload_length 0
		.amdhsa_user_sgpr_kernarg_preload_offset 0
		.amdhsa_user_sgpr_private_segment_size 0
		.amdhsa_uses_dynamic_stack 0
		.amdhsa_system_sgpr_private_segment_wavefront_offset 0
		.amdhsa_system_sgpr_workgroup_id_x 1
		.amdhsa_system_sgpr_workgroup_id_y 0
		.amdhsa_system_sgpr_workgroup_id_z 0
		.amdhsa_system_sgpr_workgroup_info 0
		.amdhsa_system_vgpr_workitem_id 0
		.amdhsa_next_free_vgpr 24
		.amdhsa_next_free_sgpr 44
		.amdhsa_accum_offset 24
		.amdhsa_reserve_vcc 1
		.amdhsa_reserve_flat_scratch 0
		.amdhsa_float_round_mode_32 0
		.amdhsa_float_round_mode_16_64 0
		.amdhsa_float_denorm_mode_32 3
		.amdhsa_float_denorm_mode_16_64 3
		.amdhsa_dx10_clamp 1
		.amdhsa_ieee_mode 1
		.amdhsa_fp16_overflow 0
		.amdhsa_tg_split 0
		.amdhsa_exception_fp_ieee_invalid_op 0
		.amdhsa_exception_fp_denorm_src 0
		.amdhsa_exception_fp_ieee_div_zero 0
		.amdhsa_exception_fp_ieee_overflow 0
		.amdhsa_exception_fp_ieee_underflow 0
		.amdhsa_exception_fp_ieee_inexact 0
		.amdhsa_exception_int_div_zero 0
	.end_amdhsa_kernel
	.section	.text._ZN9rocsparseL25csrgemm_nnz_block_per_rowILj256ELj16ELj2048ELj79EllEEvPKT4_S3_PKT3_S3_S6_S3_S6_S3_PS4_21rocsparse_index_base_S8_S8_bb,"axG",@progbits,_ZN9rocsparseL25csrgemm_nnz_block_per_rowILj256ELj16ELj2048ELj79EllEEvPKT4_S3_PKT3_S3_S6_S3_S6_S3_PS4_21rocsparse_index_base_S8_S8_bb,comdat
.Lfunc_end49:
	.size	_ZN9rocsparseL25csrgemm_nnz_block_per_rowILj256ELj16ELj2048ELj79EllEEvPKT4_S3_PKT3_S3_S6_S3_S6_S3_PS4_21rocsparse_index_base_S8_S8_bb, .Lfunc_end49-_ZN9rocsparseL25csrgemm_nnz_block_per_rowILj256ELj16ELj2048ELj79EllEEvPKT4_S3_PKT3_S3_S6_S3_S6_S3_PS4_21rocsparse_index_base_S8_S8_bb
                                        ; -- End function
	.section	.AMDGPU.csdata,"",@progbits
; Kernel info:
; codeLenInByte = 1740
; NumSgprs: 48
; NumVgprs: 24
; NumAgprs: 0
; TotalNumVgprs: 24
; ScratchSize: 0
; MemoryBound: 0
; FloatMode: 240
; IeeeMode: 1
; LDSByteSize: 0 bytes/workgroup (compile time only)
; SGPRBlocks: 5
; VGPRBlocks: 2
; NumSGPRsForWavesPerEU: 48
; NumVGPRsForWavesPerEU: 24
; AccumOffset: 24
; Occupancy: 8
; WaveLimiterHint : 1
; COMPUTE_PGM_RSRC2:SCRATCH_EN: 0
; COMPUTE_PGM_RSRC2:USER_SGPR: 6
; COMPUTE_PGM_RSRC2:TRAP_HANDLER: 0
; COMPUTE_PGM_RSRC2:TGID_X_EN: 1
; COMPUTE_PGM_RSRC2:TGID_Y_EN: 0
; COMPUTE_PGM_RSRC2:TGID_Z_EN: 0
; COMPUTE_PGM_RSRC2:TIDIG_COMP_CNT: 0
; COMPUTE_PGM_RSRC3_GFX90A:ACCUM_OFFSET: 5
; COMPUTE_PGM_RSRC3_GFX90A:TG_SPLIT: 0
	.section	.text._ZN9rocsparseL25csrgemm_nnz_block_per_rowILj512ELj16ELj4096ELj79EllEEvPKT4_S3_PKT3_S3_S6_S3_S6_S3_PS4_21rocsparse_index_base_S8_S8_bb,"axG",@progbits,_ZN9rocsparseL25csrgemm_nnz_block_per_rowILj512ELj16ELj4096ELj79EllEEvPKT4_S3_PKT3_S3_S6_S3_S6_S3_PS4_21rocsparse_index_base_S8_S8_bb,comdat
	.globl	_ZN9rocsparseL25csrgemm_nnz_block_per_rowILj512ELj16ELj4096ELj79EllEEvPKT4_S3_PKT3_S3_S6_S3_S6_S3_PS4_21rocsparse_index_base_S8_S8_bb ; -- Begin function _ZN9rocsparseL25csrgemm_nnz_block_per_rowILj512ELj16ELj4096ELj79EllEEvPKT4_S3_PKT3_S3_S6_S3_S6_S3_PS4_21rocsparse_index_base_S8_S8_bb
	.p2align	8
	.type	_ZN9rocsparseL25csrgemm_nnz_block_per_rowILj512ELj16ELj4096ELj79EllEEvPKT4_S3_PKT3_S3_S6_S3_S6_S3_PS4_21rocsparse_index_base_S8_S8_bb,@function
_ZN9rocsparseL25csrgemm_nnz_block_per_rowILj512ELj16ELj4096ELj79EllEEvPKT4_S3_PKT3_S3_S6_S3_S6_S3_PS4_21rocsparse_index_base_S8_S8_bb: ; @_ZN9rocsparseL25csrgemm_nnz_block_per_rowILj512ELj16ELj4096ELj79EllEEvPKT4_S3_PKT3_S3_S6_S3_S6_S3_PS4_21rocsparse_index_base_S8_S8_bb
; %bb.0:
	s_load_dwordx4 s[0:3], s[4:5], 0x0
	s_mov_b32 s7, 0
	s_mov_b32 s8, -1
	s_mov_b32 s9, s8
	v_or_b32_e32 v4, 0xc00, v0
	s_waitcnt lgkmcnt(0)
	s_load_dwordx2 s[0:1], s[0:1], 0x0
	v_lshl_add_u32 v1, v0, 3, 0
	v_pk_mov_b32 v[2:3], s[8:9], s[8:9] op_sel:[0,1]
	s_waitcnt lgkmcnt(0)
	s_lshl_b64 s[0:1], s[0:1], 3
	s_add_u32 s2, s2, s0
	s_addc_u32 s3, s3, s1
	s_lshl_b64 s[0:1], s[6:7], 3
	s_add_u32 s0, s2, s0
	s_addc_u32 s1, s3, s1
	s_load_dwordx2 s[6:7], s[0:1], 0x0
	s_movk_i32 s0, 0xe00
	v_cmp_gt_u32_e32 vcc, s0, v4
	ds_write2st64_b64 v1, v[2:3], v[2:3] offset1:8
	ds_write2st64_b64 v1, v[2:3], v[2:3] offset0:16 offset1:24
	ds_write2st64_b64 v1, v[2:3], v[2:3] offset0:32 offset1:40
	ds_write_b64 v1, v[2:3] offset:24576
	s_and_saveexec_b64 s[0:1], vcc
	s_cbranch_execz .LBB50_2
; %bb.1:
	v_mov_b32_e32 v2, -1
	v_mov_b32_e32 v3, v2
	ds_write_b64 v1, v[2:3] offset:28672
.LBB50_2:
	s_or_b64 exec, exec, s[0:1]
	s_load_dwordx4 s[0:3], s[4:5], 0x48
	v_and_b32_e32 v16, 15, v0
	v_lshrrev_b32_e32 v13, 4, v0
	v_pk_mov_b32 v[2:3], 0, 0
	s_waitcnt lgkmcnt(0)
	s_bitcmp1_b32 s3, 0
	s_cselect_b64 s[8:9], -1, 0
	s_and_b64 vcc, exec, s[8:9]
	s_barrier
	s_cbranch_vccz .LBB50_20
; %bb.3:
	s_load_dwordx2 s[8:9], s[4:5], 0x10
	s_lshl_b64 s[10:11], s[6:7], 3
	v_subrev_co_u32_e32 v2, vcc, s0, v13
	v_subb_co_u32_e64 v3, s[12:13], 0, 0, vcc
	s_waitcnt lgkmcnt(0)
	s_add_u32 s8, s8, s10
	s_addc_u32 s9, s9, s11
	s_load_dwordx4 s[8:11], s[8:9], 0x0
	s_mov_b32 s20, 0
	s_waitcnt lgkmcnt(0)
	s_sub_u32 s12, s10, s0
	v_mov_b32_e32 v5, s9
	v_add_co_u32_e32 v4, vcc, s8, v2
	s_subb_u32 s13, s11, 0
	v_addc_co_u32_e32 v5, vcc, v3, v5, vcc
	v_cmp_gt_i64_e32 vcc, s[12:13], v[4:5]
	v_pk_mov_b32 v[2:3], 0, 0
	s_and_saveexec_b64 s[14:15], vcc
	s_cbranch_execz .LBB50_19
; %bb.4:
	s_load_dwordx4 s[8:11], s[4:5], 0x18
	s_load_dwordx2 s[16:17], s[4:5], 0x28
	v_subrev_co_u32_e32 v17, vcc, s1, v16
	s_mov_b32 s3, s0
	s_mov_b32 s33, s1
	v_subb_co_u32_e64 v18, s[0:1], 0, 0, vcc
	s_mov_b64 s[18:19], 0
	v_pk_mov_b32 v[2:3], 0, 0
	s_waitcnt lgkmcnt(0)
	v_mov_b32_e32 v19, s9
	v_mov_b32_e32 v20, s20
	;; [unrolled: 1-line block ×4, first 2 shown]
	s_movk_i32 s9, 0x4f
	s_branch .LBB50_7
.LBB50_5:                               ;   in Loop: Header=BB50_7 Depth=1
	s_or_b64 exec, exec, s[22:23]
.LBB50_6:                               ;   in Loop: Header=BB50_7 Depth=1
	s_or_b64 exec, exec, s[20:21]
	v_add_co_u32_e32 v4, vcc, 32, v4
	v_addc_co_u32_e32 v5, vcc, 0, v5, vcc
	v_cmp_le_i64_e32 vcc, s[12:13], v[4:5]
	s_or_b64 s[18:19], vcc, s[18:19]
	s_andn2_b64 exec, exec, s[18:19]
	s_cbranch_execz .LBB50_18
.LBB50_7:                               ; =>This Loop Header: Depth=1
                                        ;     Child Loop BB50_10 Depth 2
                                        ;       Child Loop BB50_13 Depth 3
	v_lshlrev_b64 v[6:7], 3, v[4:5]
	v_add_co_u32_e32 v6, vcc, s8, v6
	v_addc_co_u32_e32 v7, vcc, v19, v7, vcc
	global_load_dwordx2 v[6:7], v[6:7], off
	s_waitcnt vmcnt(0)
	v_subrev_co_u32_e32 v6, vcc, s3, v6
	v_subb_co_u32_e32 v7, vcc, v7, v20, vcc
	v_lshlrev_b64 v[6:7], 3, v[6:7]
	v_add_co_u32_e32 v6, vcc, s10, v6
	v_addc_co_u32_e32 v7, vcc, v21, v7, vcc
	global_load_dwordx4 v[8:11], v[6:7], off
	s_waitcnt vmcnt(0)
	v_subrev_co_u32_e32 v6, vcc, s33, v10
	v_subb_co_u32_e32 v7, vcc, v11, v22, vcc
	v_add_co_u32_e32 v8, vcc, v17, v8
	v_addc_co_u32_e32 v9, vcc, v18, v9, vcc
	v_cmp_lt_i64_e32 vcc, v[8:9], v[6:7]
	s_and_saveexec_b64 s[20:21], vcc
	s_cbranch_execz .LBB50_6
; %bb.8:                                ;   in Loop: Header=BB50_7 Depth=1
	s_mov_b64 s[22:23], 0
	s_branch .LBB50_10
.LBB50_9:                               ;   in Loop: Header=BB50_10 Depth=2
	s_or_b64 exec, exec, s[30:31]
	v_add_co_u32_e32 v8, vcc, 16, v8
	v_addc_co_u32_e32 v9, vcc, 0, v9, vcc
	v_cndmask_b32_e64 v10, 0, 1, s[24:25]
	v_cmp_ge_i64_e32 vcc, v[8:9], v[6:7]
	s_or_b64 s[22:23], vcc, s[22:23]
	v_add_co_u32_e32 v2, vcc, v2, v10
	v_addc_co_u32_e32 v3, vcc, 0, v3, vcc
	s_andn2_b64 exec, exec, s[22:23]
	s_cbranch_execz .LBB50_5
.LBB50_10:                              ;   Parent Loop BB50_7 Depth=1
                                        ; =>  This Loop Header: Depth=2
                                        ;       Child Loop BB50_13 Depth 3
	v_lshlrev_b64 v[10:11], 3, v[8:9]
	v_mov_b32_e32 v12, s17
	v_add_co_u32_e32 v10, vcc, s16, v10
	v_addc_co_u32_e32 v11, vcc, v12, v11, vcc
	global_load_dwordx2 v[10:11], v[10:11], off
	s_mov_b64 s[30:31], 0
                                        ; implicit-def: $sgpr24_sgpr25
                                        ; implicit-def: $sgpr26_sgpr27
                                        ; implicit-def: $sgpr28_sgpr29
                                        ; implicit-def: $sgpr34_sgpr35
	s_waitcnt vmcnt(0)
	v_subrev_co_u32_e32 v10, vcc, s33, v10
	v_mul_lo_u32 v12, v10, s9
	v_subb_co_u32_e32 v11, vcc, v11, v22, vcc
	v_and_b32_e32 v12, 0xfff, v12
	s_branch .LBB50_13
.LBB50_11:                              ;   in Loop: Header=BB50_13 Depth=3
	s_or_b64 exec, exec, s[40:41]
	s_andn2_b64 s[28:29], s[28:29], exec
	s_and_b64 s[34:35], s[38:39], exec
	s_andn2_b64 s[26:27], s[26:27], exec
	s_and_b64 s[0:1], s[0:1], exec
	s_or_b64 s[28:29], s[28:29], s[34:35]
	s_or_b64 s[26:27], s[26:27], s[0:1]
                                        ; implicit-def: $sgpr34_sgpr35
.LBB50_12:                              ;   in Loop: Header=BB50_13 Depth=3
	s_or_b64 exec, exec, s[36:37]
	s_xor_b64 s[0:1], s[26:27], -1
	s_and_b64 s[0:1], exec, s[0:1]
	s_or_b64 s[30:31], s[0:1], s[30:31]
	s_andn2_b64 s[0:1], s[34:35], exec
	s_and_b64 s[36:37], s[28:29], exec
	s_or_b64 s[34:35], s[0:1], s[36:37]
	s_andn2_b64 s[0:1], s[24:25], exec
	s_or_b64 s[24:25], s[0:1], s[36:37]
	s_andn2_b64 exec, exec, s[30:31]
	s_cbranch_execz .LBB50_9
.LBB50_13:                              ;   Parent Loop BB50_7 Depth=1
                                        ;     Parent Loop BB50_10 Depth=2
                                        ; =>    This Inner Loop Header: Depth=3
	v_lshl_add_u32 v23, v12, 3, 0
	ds_read_b64 v[14:15], v23
	s_andn2_b64 s[28:29], s[28:29], exec
	s_andn2_b64 s[26:27], s[26:27], exec
	s_waitcnt lgkmcnt(0)
	v_cmp_ne_u64_e32 vcc, v[14:15], v[10:11]
	s_and_saveexec_b64 s[36:37], vcc
	s_cbranch_execz .LBB50_12
; %bb.14:                               ;   in Loop: Header=BB50_13 Depth=3
	v_cmp_ne_u64_e32 vcc, -1, v[14:15]
                                        ; implicit-def: $sgpr38_sgpr39
                                        ; implicit-def: $sgpr0_sgpr1
	s_and_saveexec_b64 s[40:41], vcc
	s_xor_b64 s[40:41], exec, s[40:41]
; %bb.15:                               ;   in Loop: Header=BB50_13 Depth=3
	v_add_u32_e32 v12, 1, v12
	v_and_b32_e32 v12, 0xfff, v12
	s_mov_b64 s[0:1], -1
	s_and_b64 s[38:39], s[34:35], exec
                                        ; implicit-def: $vgpr23
; %bb.16:                               ;   in Loop: Header=BB50_13 Depth=3
	s_andn2_saveexec_b64 s[40:41], s[40:41]
	s_cbranch_execz .LBB50_11
; %bb.17:                               ;   in Loop: Header=BB50_13 Depth=3
	v_pk_mov_b32 v[14:15], -1, -1
	ds_cmpst_rtn_b64 v[14:15], v23, v[14:15], v[10:11]
	s_andn2_b64 s[42:43], s[0:1], exec
	s_andn2_b64 s[38:39], s[38:39], exec
	s_waitcnt lgkmcnt(0)
	v_cmp_eq_u64_e64 s[0:1], -1, v[14:15]
	v_cmp_ne_u64_e32 vcc, -1, v[14:15]
	s_or_b64 s[34:35], s[0:1], s[34:35]
	s_and_b64 s[0:1], vcc, exec
	s_and_b64 s[34:35], s[34:35], exec
	s_or_b64 s[0:1], s[42:43], s[0:1]
	s_or_b64 s[38:39], s[38:39], s[34:35]
	s_branch .LBB50_11
.LBB50_18:
	s_or_b64 exec, exec, s[18:19]
.LBB50_19:
	s_or_b64 exec, exec, s[14:15]
.LBB50_20:
	s_load_dword s0, s[4:5], 0x54
	s_waitcnt lgkmcnt(0)
	s_bfe_u32 s0, s0, 0x10008
	s_cmp_eq_u32 s0, 0
	s_mov_b32 s0, 0
	s_cbranch_scc1 .LBB50_34
; %bb.21:
	s_load_dwordx2 s[8:9], s[4:5], 0x30
	s_lshl_b64 s[10:11], s[6:7], 3
	v_subrev_co_u32_e32 v4, vcc, s2, v13
	s_waitcnt lgkmcnt(0)
	s_add_u32 s8, s8, s10
	s_addc_u32 s9, s9, s11
	s_load_dwordx4 s[12:15], s[8:9], 0x0
	v_subb_co_u32_e64 v5, s[8:9], 0, 0, vcc
	s_waitcnt lgkmcnt(0)
	s_sub_u32 s8, s14, s2
	v_mov_b32_e32 v6, s13
	v_add_co_u32_e32 v4, vcc, s12, v4
	s_subb_u32 s9, s15, 0
	v_addc_co_u32_e32 v5, vcc, v5, v6, vcc
	v_cmp_gt_i64_e32 vcc, s[8:9], v[4:5]
	s_and_saveexec_b64 s[10:11], vcc
	s_cbranch_execz .LBB50_33
; %bb.22:
	s_load_dwordx2 s[12:13], s[4:5], 0x38
	s_mov_b64 s[14:15], 0
	v_mov_b32_e32 v9, s0
	s_movk_i32 s3, 0x4f
	s_waitcnt lgkmcnt(0)
	v_mov_b32_e32 v12, s13
	s_branch .LBB50_24
.LBB50_23:                              ;   in Loop: Header=BB50_24 Depth=1
	s_or_b64 exec, exec, s[22:23]
	v_add_co_u32_e32 v4, vcc, 32, v4
	v_addc_co_u32_e32 v5, vcc, 0, v5, vcc
	v_cndmask_b32_e64 v6, 0, 1, s[16:17]
	v_cmp_le_i64_e32 vcc, s[8:9], v[4:5]
	s_or_b64 s[14:15], vcc, s[14:15]
	v_add_co_u32_e32 v2, vcc, v2, v6
	v_addc_co_u32_e32 v3, vcc, 0, v3, vcc
	s_andn2_b64 exec, exec, s[14:15]
	s_cbranch_execz .LBB50_32
.LBB50_24:                              ; =>This Loop Header: Depth=1
                                        ;     Child Loop BB50_27 Depth 2
	v_lshlrev_b64 v[6:7], 3, v[4:5]
	v_add_co_u32_e32 v6, vcc, s12, v6
	v_addc_co_u32_e32 v7, vcc, v12, v7, vcc
	global_load_dwordx2 v[6:7], v[6:7], off
	s_mov_b64 s[22:23], 0
                                        ; implicit-def: $sgpr16_sgpr17
                                        ; implicit-def: $sgpr18_sgpr19
                                        ; implicit-def: $sgpr20_sgpr21
                                        ; implicit-def: $sgpr24_sgpr25
	s_waitcnt vmcnt(0)
	v_subrev_co_u32_e32 v6, vcc, s2, v6
	v_mul_lo_u32 v8, v6, s3
	v_subb_co_u32_e32 v7, vcc, v7, v9, vcc
	v_and_b32_e32 v8, 0xfff, v8
	s_branch .LBB50_27
.LBB50_25:                              ;   in Loop: Header=BB50_27 Depth=2
	s_or_b64 exec, exec, s[30:31]
	s_andn2_b64 s[20:21], s[20:21], exec
	s_and_b64 s[24:25], s[28:29], exec
	s_andn2_b64 s[18:19], s[18:19], exec
	s_and_b64 s[0:1], s[0:1], exec
	s_or_b64 s[20:21], s[20:21], s[24:25]
	s_or_b64 s[18:19], s[18:19], s[0:1]
                                        ; implicit-def: $sgpr24_sgpr25
.LBB50_26:                              ;   in Loop: Header=BB50_27 Depth=2
	s_or_b64 exec, exec, s[26:27]
	s_xor_b64 s[0:1], s[18:19], -1
	s_and_b64 s[0:1], exec, s[0:1]
	s_or_b64 s[22:23], s[0:1], s[22:23]
	s_andn2_b64 s[0:1], s[24:25], exec
	s_and_b64 s[26:27], s[20:21], exec
	s_or_b64 s[24:25], s[0:1], s[26:27]
	s_andn2_b64 s[0:1], s[16:17], exec
	s_or_b64 s[16:17], s[0:1], s[26:27]
	s_andn2_b64 exec, exec, s[22:23]
	s_cbranch_execz .LBB50_23
.LBB50_27:                              ;   Parent Loop BB50_24 Depth=1
                                        ; =>  This Inner Loop Header: Depth=2
	v_lshl_add_u32 v14, v8, 3, 0
	ds_read_b64 v[10:11], v14
	s_andn2_b64 s[20:21], s[20:21], exec
	s_andn2_b64 s[18:19], s[18:19], exec
	s_waitcnt lgkmcnt(0)
	v_cmp_ne_u64_e32 vcc, v[10:11], v[6:7]
	s_and_saveexec_b64 s[26:27], vcc
	s_cbranch_execz .LBB50_26
; %bb.28:                               ;   in Loop: Header=BB50_27 Depth=2
	v_cmp_ne_u64_e32 vcc, -1, v[10:11]
                                        ; implicit-def: $sgpr28_sgpr29
                                        ; implicit-def: $sgpr0_sgpr1
	s_and_saveexec_b64 s[30:31], vcc
	s_xor_b64 s[30:31], exec, s[30:31]
; %bb.29:                               ;   in Loop: Header=BB50_27 Depth=2
	v_add_u32_e32 v8, 1, v8
	v_and_b32_e32 v8, 0xfff, v8
	s_mov_b64 s[0:1], -1
	s_and_b64 s[28:29], s[24:25], exec
                                        ; implicit-def: $vgpr14
; %bb.30:                               ;   in Loop: Header=BB50_27 Depth=2
	s_andn2_saveexec_b64 s[30:31], s[30:31]
	s_cbranch_execz .LBB50_25
; %bb.31:                               ;   in Loop: Header=BB50_27 Depth=2
	v_pk_mov_b32 v[10:11], -1, -1
	ds_cmpst_rtn_b64 v[10:11], v14, v[10:11], v[6:7]
	s_andn2_b64 s[34:35], s[0:1], exec
	s_andn2_b64 s[28:29], s[28:29], exec
	s_waitcnt lgkmcnt(0)
	v_cmp_eq_u64_e64 s[0:1], -1, v[10:11]
	v_cmp_ne_u64_e32 vcc, -1, v[10:11]
	s_or_b64 s[24:25], s[0:1], s[24:25]
	s_and_b64 s[0:1], vcc, exec
	s_and_b64 s[24:25], s[24:25], exec
	s_or_b64 s[0:1], s[34:35], s[0:1]
	s_or_b64 s[28:29], s[28:29], s[24:25]
	s_branch .LBB50_25
.LBB50_32:
	s_or_b64 exec, exec, s[14:15]
.LBB50_33:
	s_or_b64 exec, exec, s[10:11]
.LBB50_34:
	v_mov_b32_dpp v4, v2 row_shr:1 row_mask:0xf bank_mask:0xf
	v_add_co_u32_e32 v2, vcc, v2, v4
	v_mov_b32_dpp v5, v3 row_shr:1 row_mask:0xf bank_mask:0xf
	v_addc_co_u32_e32 v3, vcc, 0, v3, vcc
	v_add_co_u32_e32 v4, vcc, 0, v2
	v_addc_co_u32_e32 v3, vcc, v5, v3, vcc
	v_mov_b32_dpp v2, v2 row_shr:2 row_mask:0xf bank_mask:0xf
	v_add_co_u32_e32 v2, vcc, v4, v2
	v_mov_b32_dpp v5, v3 row_shr:2 row_mask:0xf bank_mask:0xf
	v_addc_co_u32_e32 v3, vcc, 0, v3, vcc
	v_add_co_u32_e32 v4, vcc, 0, v2
	v_addc_co_u32_e32 v3, vcc, v3, v5, vcc
	v_mov_b32_dpp v2, v2 row_shr:4 row_mask:0xf bank_mask:0xe
	s_nop 0
	v_mov_b32_dpp v5, v3 row_shr:4 row_mask:0xf bank_mask:0xe
	v_add_co_u32_e32 v2, vcc, v2, v4
	v_addc_co_u32_e32 v3, vcc, v5, v3, vcc
	s_nop 0
	v_mov_b32_dpp v4, v2 row_shr:8 row_mask:0xf bank_mask:0xc
	v_mov_b32_dpp v5, v3 row_shr:8 row_mask:0xf bank_mask:0xc
	v_cmp_eq_u32_e32 vcc, 15, v16
	s_barrier
	s_and_saveexec_b64 s[0:1], vcc
	s_cbranch_execz .LBB50_36
; %bb.35:
	v_add_co_u32_e32 v2, vcc, v4, v2
	v_lshl_add_u32 v6, v13, 3, 0
	v_addc_co_u32_e32 v3, vcc, v5, v3, vcc
	ds_write_b64 v6, v[2:3]
.LBB50_36:
	s_or_b64 exec, exec, s[0:1]
	v_cmp_gt_u32_e32 vcc, 32, v0
	v_pk_mov_b32 v[2:3], 0, 0
	s_waitcnt lgkmcnt(0)
	s_barrier
	s_and_saveexec_b64 s[0:1], vcc
	s_cbranch_execz .LBB50_38
; %bb.37:
	ds_read_b64 v[2:3], v1
.LBB50_38:
	s_or_b64 exec, exec, s[0:1]
	s_waitcnt lgkmcnt(0)
	v_mov_b32_dpp v1, v2 row_shr:1 row_mask:0xf bank_mask:0xf
	v_add_co_u32_e32 v1, vcc, v2, v1
	v_addc_co_u32_e32 v2, vcc, 0, v3, vcc
	v_mov_b32_dpp v4, v3 row_shr:1 row_mask:0xf bank_mask:0xf
	v_add_co_u32_e32 v3, vcc, 0, v1
	v_addc_co_u32_e32 v2, vcc, v4, v2, vcc
	v_mov_b32_dpp v1, v1 row_shr:2 row_mask:0xf bank_mask:0xf
	v_add_co_u32_e32 v1, vcc, v3, v1
	v_mov_b32_dpp v4, v2 row_shr:2 row_mask:0xf bank_mask:0xf
	v_addc_co_u32_e32 v2, vcc, 0, v2, vcc
	v_add_co_u32_e32 v3, vcc, 0, v1
	v_addc_co_u32_e32 v2, vcc, v2, v4, vcc
	v_mov_b32_dpp v1, v1 row_shr:4 row_mask:0xf bank_mask:0xe
	s_nop 0
	v_mov_b32_dpp v4, v2 row_shr:4 row_mask:0xf bank_mask:0xe
	v_add_co_u32_e32 v1, vcc, v1, v3
	v_addc_co_u32_e32 v2, vcc, v4, v2, vcc
	s_nop 0
	v_mov_b32_dpp v3, v1 row_shr:8 row_mask:0xf bank_mask:0xc
	v_mov_b32_dpp v4, v2 row_shr:8 row_mask:0xf bank_mask:0xc
	v_add_co_u32_e32 v1, vcc, v3, v1
	v_addc_co_u32_e32 v2, vcc, v4, v2, vcc
	s_nop 0
	v_mov_b32_dpp v3, v1 row_bcast:15 row_mask:0xa bank_mask:0xf
	v_mov_b32_dpp v4, v2 row_bcast:15 row_mask:0xa bank_mask:0xf
	v_cmp_eq_u32_e32 vcc, 31, v0
	s_and_saveexec_b64 s[0:1], vcc
	s_cbranch_execz .LBB50_40
; %bb.39:
	s_load_dwordx2 s[0:1], s[4:5], 0x40
	s_lshl_b64 s[2:3], s[6:7], 3
	v_add_co_u32_e32 v0, vcc, v3, v1
	v_mov_b32_e32 v5, 0
	s_waitcnt lgkmcnt(0)
	s_add_u32 s0, s0, s2
	s_addc_u32 s1, s1, s3
	v_addc_co_u32_e32 v1, vcc, v4, v2, vcc
	global_store_dwordx2 v5, v[0:1], s[0:1]
.LBB50_40:
	s_endpgm
	.section	.rodata,"a",@progbits
	.p2align	6, 0x0
	.amdhsa_kernel _ZN9rocsparseL25csrgemm_nnz_block_per_rowILj512ELj16ELj4096ELj79EllEEvPKT4_S3_PKT3_S3_S6_S3_S6_S3_PS4_21rocsparse_index_base_S8_S8_bb
		.amdhsa_group_segment_fixed_size 0
		.amdhsa_private_segment_fixed_size 0
		.amdhsa_kernarg_size 88
		.amdhsa_user_sgpr_count 6
		.amdhsa_user_sgpr_private_segment_buffer 1
		.amdhsa_user_sgpr_dispatch_ptr 0
		.amdhsa_user_sgpr_queue_ptr 0
		.amdhsa_user_sgpr_kernarg_segment_ptr 1
		.amdhsa_user_sgpr_dispatch_id 0
		.amdhsa_user_sgpr_flat_scratch_init 0
		.amdhsa_user_sgpr_kernarg_preload_length 0
		.amdhsa_user_sgpr_kernarg_preload_offset 0
		.amdhsa_user_sgpr_private_segment_size 0
		.amdhsa_uses_dynamic_stack 0
		.amdhsa_system_sgpr_private_segment_wavefront_offset 0
		.amdhsa_system_sgpr_workgroup_id_x 1
		.amdhsa_system_sgpr_workgroup_id_y 0
		.amdhsa_system_sgpr_workgroup_id_z 0
		.amdhsa_system_sgpr_workgroup_info 0
		.amdhsa_system_vgpr_workitem_id 0
		.amdhsa_next_free_vgpr 24
		.amdhsa_next_free_sgpr 44
		.amdhsa_accum_offset 24
		.amdhsa_reserve_vcc 1
		.amdhsa_reserve_flat_scratch 0
		.amdhsa_float_round_mode_32 0
		.amdhsa_float_round_mode_16_64 0
		.amdhsa_float_denorm_mode_32 3
		.amdhsa_float_denorm_mode_16_64 3
		.amdhsa_dx10_clamp 1
		.amdhsa_ieee_mode 1
		.amdhsa_fp16_overflow 0
		.amdhsa_tg_split 0
		.amdhsa_exception_fp_ieee_invalid_op 0
		.amdhsa_exception_fp_denorm_src 0
		.amdhsa_exception_fp_ieee_div_zero 0
		.amdhsa_exception_fp_ieee_overflow 0
		.amdhsa_exception_fp_ieee_underflow 0
		.amdhsa_exception_fp_ieee_inexact 0
		.amdhsa_exception_int_div_zero 0
	.end_amdhsa_kernel
	.section	.text._ZN9rocsparseL25csrgemm_nnz_block_per_rowILj512ELj16ELj4096ELj79EllEEvPKT4_S3_PKT3_S3_S6_S3_S6_S3_PS4_21rocsparse_index_base_S8_S8_bb,"axG",@progbits,_ZN9rocsparseL25csrgemm_nnz_block_per_rowILj512ELj16ELj4096ELj79EllEEvPKT4_S3_PKT3_S3_S6_S3_S6_S3_PS4_21rocsparse_index_base_S8_S8_bb,comdat
.Lfunc_end50:
	.size	_ZN9rocsparseL25csrgemm_nnz_block_per_rowILj512ELj16ELj4096ELj79EllEEvPKT4_S3_PKT3_S3_S6_S3_S6_S3_PS4_21rocsparse_index_base_S8_S8_bb, .Lfunc_end50-_ZN9rocsparseL25csrgemm_nnz_block_per_rowILj512ELj16ELj4096ELj79EllEEvPKT4_S3_PKT3_S3_S6_S3_S6_S3_PS4_21rocsparse_index_base_S8_S8_bb
                                        ; -- End function
	.section	.AMDGPU.csdata,"",@progbits
; Kernel info:
; codeLenInByte = 1712
; NumSgprs: 48
; NumVgprs: 24
; NumAgprs: 0
; TotalNumVgprs: 24
; ScratchSize: 0
; MemoryBound: 0
; FloatMode: 240
; IeeeMode: 1
; LDSByteSize: 0 bytes/workgroup (compile time only)
; SGPRBlocks: 5
; VGPRBlocks: 2
; NumSGPRsForWavesPerEU: 48
; NumVGPRsForWavesPerEU: 24
; AccumOffset: 24
; Occupancy: 8
; WaveLimiterHint : 1
; COMPUTE_PGM_RSRC2:SCRATCH_EN: 0
; COMPUTE_PGM_RSRC2:USER_SGPR: 6
; COMPUTE_PGM_RSRC2:TRAP_HANDLER: 0
; COMPUTE_PGM_RSRC2:TGID_X_EN: 1
; COMPUTE_PGM_RSRC2:TGID_Y_EN: 0
; COMPUTE_PGM_RSRC2:TGID_Z_EN: 0
; COMPUTE_PGM_RSRC2:TIDIG_COMP_CNT: 0
; COMPUTE_PGM_RSRC3_GFX90A:ACCUM_OFFSET: 5
; COMPUTE_PGM_RSRC3_GFX90A:TG_SPLIT: 0
	.section	.text._ZN9rocsparseL25csrgemm_nnz_block_per_rowILj1024ELj32ELj8192ELj79EllEEvPKT4_S3_PKT3_S3_S6_S3_S6_S3_PS4_21rocsparse_index_base_S8_S8_bb,"axG",@progbits,_ZN9rocsparseL25csrgemm_nnz_block_per_rowILj1024ELj32ELj8192ELj79EllEEvPKT4_S3_PKT3_S3_S6_S3_S6_S3_PS4_21rocsparse_index_base_S8_S8_bb,comdat
	.globl	_ZN9rocsparseL25csrgemm_nnz_block_per_rowILj1024ELj32ELj8192ELj79EllEEvPKT4_S3_PKT3_S3_S6_S3_S6_S3_PS4_21rocsparse_index_base_S8_S8_bb ; -- Begin function _ZN9rocsparseL25csrgemm_nnz_block_per_rowILj1024ELj32ELj8192ELj79EllEEvPKT4_S3_PKT3_S3_S6_S3_S6_S3_PS4_21rocsparse_index_base_S8_S8_bb
	.p2align	8
	.type	_ZN9rocsparseL25csrgemm_nnz_block_per_rowILj1024ELj32ELj8192ELj79EllEEvPKT4_S3_PKT3_S3_S6_S3_S6_S3_PS4_21rocsparse_index_base_S8_S8_bb,@function
_ZN9rocsparseL25csrgemm_nnz_block_per_rowILj1024ELj32ELj8192ELj79EllEEvPKT4_S3_PKT3_S3_S6_S3_S6_S3_PS4_21rocsparse_index_base_S8_S8_bb: ; @_ZN9rocsparseL25csrgemm_nnz_block_per_rowILj1024ELj32ELj8192ELj79EllEEvPKT4_S3_PKT3_S3_S6_S3_S6_S3_PS4_21rocsparse_index_base_S8_S8_bb
; %bb.0:
	s_load_dwordx4 s[8:11], s[4:5], 0x0
	s_load_dwordx4 s[0:3], s[4:5], 0x48
	s_mov_b32 s7, 0
	s_mov_b32 s14, -1
	s_mov_b32 s15, s14
	s_waitcnt lgkmcnt(0)
	s_load_dwordx2 s[8:9], s[8:9], 0x0
	v_lshl_add_u32 v1, v0, 3, 0
	v_pk_mov_b32 v[2:3], s[14:15], s[14:15] op_sel:[0,1]
	v_and_b32_e32 v13, 31, v0
	v_lshrrev_b32_e32 v16, 5, v0
	s_waitcnt lgkmcnt(0)
	s_lshl_b64 s[8:9], s[8:9], 3
	s_add_u32 s10, s10, s8
	s_addc_u32 s11, s11, s9
	s_lshl_b64 s[8:9], s[6:7], 3
	s_add_u32 s8, s10, s8
	s_addc_u32 s9, s11, s9
	s_load_dwordx2 s[12:13], s[8:9], 0x0
	ds_write2st64_b64 v1, v[2:3], v[2:3] offset1:16
	ds_write2st64_b64 v1, v[2:3], v[2:3] offset0:32 offset1:48
	ds_write2st64_b64 v1, v[2:3], v[2:3] offset0:64 offset1:80
	;; [unrolled: 1-line block ×3, first 2 shown]
	s_bitcmp0_b32 s3, 0
	v_pk_mov_b32 v[2:3], 0, 0
	s_waitcnt lgkmcnt(0)
	s_barrier
	s_cbranch_scc1 .LBB51_18
; %bb.1:
	s_load_dwordx2 s[8:9], s[4:5], 0x10
	s_lshl_b64 s[10:11], s[12:13], 3
	v_subrev_co_u32_e32 v2, vcc, s0, v16
	v_subb_co_u32_e64 v3, s[14:15], 0, 0, vcc
	s_waitcnt lgkmcnt(0)
	s_add_u32 s8, s8, s10
	s_addc_u32 s9, s9, s11
	s_load_dwordx4 s[8:11], s[8:9], 0x0
	s_waitcnt lgkmcnt(0)
	s_sub_u32 s14, s10, s0
	v_mov_b32_e32 v5, s9
	v_add_co_u32_e32 v4, vcc, s8, v2
	s_subb_u32 s15, s11, 0
	v_addc_co_u32_e32 v5, vcc, v3, v5, vcc
	v_cmp_gt_i64_e32 vcc, s[14:15], v[4:5]
	v_pk_mov_b32 v[2:3], 0, 0
	s_and_saveexec_b64 s[16:17], vcc
	s_cbranch_execz .LBB51_17
; %bb.2:
	s_load_dwordx4 s[8:11], s[4:5], 0x18
	s_load_dwordx2 s[18:19], s[4:5], 0x28
	s_mov_b32 s6, 0
	v_subrev_co_u32_e32 v17, vcc, s1, v13
	s_mov_b32 s3, s0
	s_mov_b32 s33, s1
	v_subb_co_u32_e64 v18, s[0:1], 0, 0, vcc
	s_mov_b64 s[20:21], 0
	v_pk_mov_b32 v[2:3], 0, 0
	s_waitcnt lgkmcnt(0)
	v_mov_b32_e32 v19, s9
	v_mov_b32_e32 v20, s7
	;; [unrolled: 1-line block ×4, first 2 shown]
	s_movk_i32 s9, 0x4f
	s_branch .LBB51_5
.LBB51_3:                               ;   in Loop: Header=BB51_5 Depth=1
	s_or_b64 exec, exec, s[22:23]
.LBB51_4:                               ;   in Loop: Header=BB51_5 Depth=1
	s_or_b64 exec, exec, s[6:7]
	v_add_co_u32_e32 v4, vcc, 32, v4
	v_addc_co_u32_e32 v5, vcc, 0, v5, vcc
	v_cmp_le_i64_e32 vcc, s[14:15], v[4:5]
	s_or_b64 s[20:21], vcc, s[20:21]
	s_andn2_b64 exec, exec, s[20:21]
	s_cbranch_execz .LBB51_16
.LBB51_5:                               ; =>This Loop Header: Depth=1
                                        ;     Child Loop BB51_8 Depth 2
                                        ;       Child Loop BB51_11 Depth 3
	v_lshlrev_b64 v[6:7], 3, v[4:5]
	v_add_co_u32_e32 v6, vcc, s8, v6
	v_addc_co_u32_e32 v7, vcc, v19, v7, vcc
	global_load_dwordx2 v[6:7], v[6:7], off
	s_waitcnt vmcnt(0)
	v_subrev_co_u32_e32 v6, vcc, s3, v6
	v_subb_co_u32_e32 v7, vcc, v7, v20, vcc
	v_lshlrev_b64 v[6:7], 3, v[6:7]
	v_add_co_u32_e32 v6, vcc, s10, v6
	v_addc_co_u32_e32 v7, vcc, v21, v7, vcc
	global_load_dwordx4 v[8:11], v[6:7], off
	s_waitcnt vmcnt(0)
	v_subrev_co_u32_e32 v6, vcc, s33, v10
	v_subb_co_u32_e32 v7, vcc, v11, v22, vcc
	v_add_co_u32_e32 v8, vcc, v17, v8
	v_addc_co_u32_e32 v9, vcc, v18, v9, vcc
	v_cmp_lt_i64_e32 vcc, v[8:9], v[6:7]
	s_and_saveexec_b64 s[6:7], vcc
	s_cbranch_execz .LBB51_4
; %bb.6:                                ;   in Loop: Header=BB51_5 Depth=1
	s_mov_b64 s[22:23], 0
	s_branch .LBB51_8
.LBB51_7:                               ;   in Loop: Header=BB51_8 Depth=2
	s_or_b64 exec, exec, s[30:31]
	v_add_co_u32_e32 v8, vcc, 32, v8
	v_addc_co_u32_e32 v9, vcc, 0, v9, vcc
	v_cndmask_b32_e64 v10, 0, 1, s[24:25]
	v_cmp_ge_i64_e32 vcc, v[8:9], v[6:7]
	s_or_b64 s[22:23], vcc, s[22:23]
	v_add_co_u32_e32 v2, vcc, v2, v10
	v_addc_co_u32_e32 v3, vcc, 0, v3, vcc
	s_andn2_b64 exec, exec, s[22:23]
	s_cbranch_execz .LBB51_3
.LBB51_8:                               ;   Parent Loop BB51_5 Depth=1
                                        ; =>  This Loop Header: Depth=2
                                        ;       Child Loop BB51_11 Depth 3
	v_lshlrev_b64 v[10:11], 3, v[8:9]
	v_mov_b32_e32 v12, s19
	v_add_co_u32_e32 v10, vcc, s18, v10
	v_addc_co_u32_e32 v11, vcc, v12, v11, vcc
	global_load_dwordx2 v[10:11], v[10:11], off
	s_mov_b64 s[30:31], 0
                                        ; implicit-def: $sgpr24_sgpr25
                                        ; implicit-def: $sgpr26_sgpr27
                                        ; implicit-def: $sgpr28_sgpr29
                                        ; implicit-def: $sgpr34_sgpr35
	s_waitcnt vmcnt(0)
	v_subrev_co_u32_e32 v10, vcc, s33, v10
	v_mul_lo_u32 v12, v10, s9
	v_subb_co_u32_e32 v11, vcc, v11, v22, vcc
	v_and_b32_e32 v12, 0x1fff, v12
	s_branch .LBB51_11
.LBB51_9:                               ;   in Loop: Header=BB51_11 Depth=3
	s_or_b64 exec, exec, s[40:41]
	s_andn2_b64 s[28:29], s[28:29], exec
	s_and_b64 s[34:35], s[38:39], exec
	s_andn2_b64 s[26:27], s[26:27], exec
	s_and_b64 s[0:1], s[0:1], exec
	s_or_b64 s[28:29], s[28:29], s[34:35]
	s_or_b64 s[26:27], s[26:27], s[0:1]
                                        ; implicit-def: $sgpr34_sgpr35
.LBB51_10:                              ;   in Loop: Header=BB51_11 Depth=3
	s_or_b64 exec, exec, s[36:37]
	s_xor_b64 s[0:1], s[26:27], -1
	s_and_b64 s[0:1], exec, s[0:1]
	s_or_b64 s[30:31], s[0:1], s[30:31]
	s_andn2_b64 s[0:1], s[34:35], exec
	s_and_b64 s[36:37], s[28:29], exec
	s_or_b64 s[34:35], s[0:1], s[36:37]
	s_andn2_b64 s[0:1], s[24:25], exec
	s_or_b64 s[24:25], s[0:1], s[36:37]
	s_andn2_b64 exec, exec, s[30:31]
	s_cbranch_execz .LBB51_7
.LBB51_11:                              ;   Parent Loop BB51_5 Depth=1
                                        ;     Parent Loop BB51_8 Depth=2
                                        ; =>    This Inner Loop Header: Depth=3
	v_lshl_add_u32 v23, v12, 3, 0
	ds_read_b64 v[14:15], v23
	s_andn2_b64 s[28:29], s[28:29], exec
	s_andn2_b64 s[26:27], s[26:27], exec
	s_waitcnt lgkmcnt(0)
	v_cmp_ne_u64_e32 vcc, v[14:15], v[10:11]
	s_and_saveexec_b64 s[36:37], vcc
	s_cbranch_execz .LBB51_10
; %bb.12:                               ;   in Loop: Header=BB51_11 Depth=3
	v_cmp_ne_u64_e32 vcc, -1, v[14:15]
                                        ; implicit-def: $sgpr38_sgpr39
                                        ; implicit-def: $sgpr0_sgpr1
	s_and_saveexec_b64 s[40:41], vcc
	s_xor_b64 s[40:41], exec, s[40:41]
; %bb.13:                               ;   in Loop: Header=BB51_11 Depth=3
	v_add_u32_e32 v12, 1, v12
	v_and_b32_e32 v12, 0x1fff, v12
	s_mov_b64 s[0:1], -1
	s_and_b64 s[38:39], s[34:35], exec
                                        ; implicit-def: $vgpr23
; %bb.14:                               ;   in Loop: Header=BB51_11 Depth=3
	s_andn2_saveexec_b64 s[40:41], s[40:41]
	s_cbranch_execz .LBB51_9
; %bb.15:                               ;   in Loop: Header=BB51_11 Depth=3
	v_pk_mov_b32 v[14:15], -1, -1
	ds_cmpst_rtn_b64 v[14:15], v23, v[14:15], v[10:11]
	s_andn2_b64 s[42:43], s[0:1], exec
	s_andn2_b64 s[38:39], s[38:39], exec
	s_waitcnt lgkmcnt(0)
	v_cmp_eq_u64_e64 s[0:1], -1, v[14:15]
	v_cmp_ne_u64_e32 vcc, -1, v[14:15]
	s_or_b64 s[34:35], s[0:1], s[34:35]
	s_and_b64 s[0:1], vcc, exec
	s_and_b64 s[34:35], s[34:35], exec
	s_or_b64 s[0:1], s[42:43], s[0:1]
	s_or_b64 s[38:39], s[38:39], s[34:35]
	s_branch .LBB51_9
.LBB51_16:
	s_or_b64 exec, exec, s[20:21]
.LBB51_17:
	s_or_b64 exec, exec, s[16:17]
.LBB51_18:
	s_load_dword s0, s[4:5], 0x54
	s_waitcnt lgkmcnt(0)
	s_bfe_u32 s0, s0, 0x10008
	s_cmp_eq_u32 s0, 0
	s_cbranch_scc1 .LBB51_32
; %bb.19:
	s_load_dwordx2 s[6:7], s[4:5], 0x30
	s_lshl_b64 s[8:9], s[12:13], 3
	v_subrev_co_u32_e32 v4, vcc, s2, v16
	s_mov_b32 s0, 0
	s_waitcnt lgkmcnt(0)
	s_add_u32 s6, s6, s8
	s_addc_u32 s7, s7, s9
	s_load_dwordx4 s[8:11], s[6:7], 0x0
	v_subb_co_u32_e64 v5, s[6:7], 0, 0, vcc
	s_waitcnt lgkmcnt(0)
	s_sub_u32 s6, s10, s2
	v_mov_b32_e32 v6, s9
	v_add_co_u32_e32 v4, vcc, s8, v4
	s_subb_u32 s7, s11, 0
	v_addc_co_u32_e32 v5, vcc, v5, v6, vcc
	v_cmp_gt_i64_e32 vcc, s[6:7], v[4:5]
	s_and_saveexec_b64 s[8:9], vcc
	s_cbranch_execz .LBB51_31
; %bb.20:
	s_load_dwordx2 s[10:11], s[4:5], 0x38
	s_mov_b64 s[14:15], 0
	v_mov_b32_e32 v9, s0
	s_movk_i32 s3, 0x4f
	s_waitcnt lgkmcnt(0)
	v_mov_b32_e32 v12, s11
	s_branch .LBB51_22
.LBB51_21:                              ;   in Loop: Header=BB51_22 Depth=1
	s_or_b64 exec, exec, s[22:23]
	v_add_co_u32_e32 v4, vcc, 32, v4
	v_addc_co_u32_e32 v5, vcc, 0, v5, vcc
	v_cndmask_b32_e64 v6, 0, 1, s[16:17]
	v_cmp_le_i64_e32 vcc, s[6:7], v[4:5]
	s_or_b64 s[14:15], vcc, s[14:15]
	v_add_co_u32_e32 v2, vcc, v2, v6
	v_addc_co_u32_e32 v3, vcc, 0, v3, vcc
	s_andn2_b64 exec, exec, s[14:15]
	s_cbranch_execz .LBB51_30
.LBB51_22:                              ; =>This Loop Header: Depth=1
                                        ;     Child Loop BB51_25 Depth 2
	v_lshlrev_b64 v[6:7], 3, v[4:5]
	v_add_co_u32_e32 v6, vcc, s10, v6
	v_addc_co_u32_e32 v7, vcc, v12, v7, vcc
	global_load_dwordx2 v[6:7], v[6:7], off
	s_mov_b64 s[22:23], 0
                                        ; implicit-def: $sgpr16_sgpr17
                                        ; implicit-def: $sgpr18_sgpr19
                                        ; implicit-def: $sgpr20_sgpr21
                                        ; implicit-def: $sgpr24_sgpr25
	s_waitcnt vmcnt(0)
	v_subrev_co_u32_e32 v6, vcc, s2, v6
	v_mul_lo_u32 v8, v6, s3
	v_subb_co_u32_e32 v7, vcc, v7, v9, vcc
	v_and_b32_e32 v8, 0x1fff, v8
	s_branch .LBB51_25
.LBB51_23:                              ;   in Loop: Header=BB51_25 Depth=2
	s_or_b64 exec, exec, s[30:31]
	s_andn2_b64 s[20:21], s[20:21], exec
	s_and_b64 s[24:25], s[28:29], exec
	s_andn2_b64 s[18:19], s[18:19], exec
	s_and_b64 s[0:1], s[0:1], exec
	s_or_b64 s[20:21], s[20:21], s[24:25]
	s_or_b64 s[18:19], s[18:19], s[0:1]
                                        ; implicit-def: $sgpr24_sgpr25
.LBB51_24:                              ;   in Loop: Header=BB51_25 Depth=2
	s_or_b64 exec, exec, s[26:27]
	s_xor_b64 s[0:1], s[18:19], -1
	s_and_b64 s[0:1], exec, s[0:1]
	s_or_b64 s[22:23], s[0:1], s[22:23]
	s_andn2_b64 s[0:1], s[24:25], exec
	s_and_b64 s[26:27], s[20:21], exec
	s_or_b64 s[24:25], s[0:1], s[26:27]
	s_andn2_b64 s[0:1], s[16:17], exec
	s_or_b64 s[16:17], s[0:1], s[26:27]
	s_andn2_b64 exec, exec, s[22:23]
	s_cbranch_execz .LBB51_21
.LBB51_25:                              ;   Parent Loop BB51_22 Depth=1
                                        ; =>  This Inner Loop Header: Depth=2
	v_lshl_add_u32 v14, v8, 3, 0
	ds_read_b64 v[10:11], v14
	s_andn2_b64 s[20:21], s[20:21], exec
	s_andn2_b64 s[18:19], s[18:19], exec
	s_waitcnt lgkmcnt(0)
	v_cmp_ne_u64_e32 vcc, v[10:11], v[6:7]
	s_and_saveexec_b64 s[26:27], vcc
	s_cbranch_execz .LBB51_24
; %bb.26:                               ;   in Loop: Header=BB51_25 Depth=2
	v_cmp_ne_u64_e32 vcc, -1, v[10:11]
                                        ; implicit-def: $sgpr28_sgpr29
                                        ; implicit-def: $sgpr0_sgpr1
	s_and_saveexec_b64 s[30:31], vcc
	s_xor_b64 s[30:31], exec, s[30:31]
; %bb.27:                               ;   in Loop: Header=BB51_25 Depth=2
	v_add_u32_e32 v8, 1, v8
	v_and_b32_e32 v8, 0x1fff, v8
	s_mov_b64 s[0:1], -1
	s_and_b64 s[28:29], s[24:25], exec
                                        ; implicit-def: $vgpr14
; %bb.28:                               ;   in Loop: Header=BB51_25 Depth=2
	s_andn2_saveexec_b64 s[30:31], s[30:31]
	s_cbranch_execz .LBB51_23
; %bb.29:                               ;   in Loop: Header=BB51_25 Depth=2
	v_pk_mov_b32 v[10:11], -1, -1
	ds_cmpst_rtn_b64 v[10:11], v14, v[10:11], v[6:7]
	s_andn2_b64 s[34:35], s[0:1], exec
	s_andn2_b64 s[28:29], s[28:29], exec
	s_waitcnt lgkmcnt(0)
	v_cmp_eq_u64_e64 s[0:1], -1, v[10:11]
	v_cmp_ne_u64_e32 vcc, -1, v[10:11]
	s_or_b64 s[24:25], s[0:1], s[24:25]
	s_and_b64 s[0:1], vcc, exec
	s_and_b64 s[24:25], s[24:25], exec
	s_or_b64 s[0:1], s[34:35], s[0:1]
	s_or_b64 s[28:29], s[28:29], s[24:25]
	s_branch .LBB51_23
.LBB51_30:
	s_or_b64 exec, exec, s[14:15]
.LBB51_31:
	s_or_b64 exec, exec, s[8:9]
.LBB51_32:
	v_mov_b32_dpp v4, v2 row_shr:1 row_mask:0xf bank_mask:0xf
	v_add_co_u32_e32 v2, vcc, v2, v4
	v_mov_b32_dpp v5, v3 row_shr:1 row_mask:0xf bank_mask:0xf
	v_addc_co_u32_e32 v3, vcc, 0, v3, vcc
	v_add_co_u32_e32 v4, vcc, 0, v2
	v_addc_co_u32_e32 v3, vcc, v5, v3, vcc
	v_mov_b32_dpp v2, v2 row_shr:2 row_mask:0xf bank_mask:0xf
	v_add_co_u32_e32 v2, vcc, v4, v2
	v_mov_b32_dpp v5, v3 row_shr:2 row_mask:0xf bank_mask:0xf
	v_addc_co_u32_e32 v3, vcc, 0, v3, vcc
	v_add_co_u32_e32 v4, vcc, 0, v2
	v_addc_co_u32_e32 v3, vcc, v3, v5, vcc
	v_mov_b32_dpp v2, v2 row_shr:4 row_mask:0xf bank_mask:0xe
	s_nop 0
	v_mov_b32_dpp v5, v3 row_shr:4 row_mask:0xf bank_mask:0xe
	v_add_co_u32_e32 v2, vcc, v2, v4
	v_addc_co_u32_e32 v3, vcc, v5, v3, vcc
	s_nop 0
	v_mov_b32_dpp v4, v2 row_shr:8 row_mask:0xf bank_mask:0xc
	v_mov_b32_dpp v5, v3 row_shr:8 row_mask:0xf bank_mask:0xc
	v_add_co_u32_e32 v2, vcc, v4, v2
	v_addc_co_u32_e32 v3, vcc, v5, v3, vcc
	s_nop 0
	v_mov_b32_dpp v4, v2 row_bcast:15 row_mask:0xa bank_mask:0xf
	v_mov_b32_dpp v5, v3 row_bcast:15 row_mask:0xa bank_mask:0xf
	v_cmp_eq_u32_e32 vcc, 31, v13
	s_barrier
	s_and_saveexec_b64 s[0:1], vcc
	s_cbranch_execz .LBB51_34
; %bb.33:
	v_add_co_u32_e32 v2, vcc, v4, v2
	v_lshl_add_u32 v6, v16, 3, 0
	v_addc_co_u32_e32 v3, vcc, v5, v3, vcc
	ds_write_b64 v6, v[2:3]
.LBB51_34:
	s_or_b64 exec, exec, s[0:1]
	v_cmp_gt_u32_e32 vcc, 32, v0
	v_pk_mov_b32 v[2:3], 0, 0
	s_waitcnt lgkmcnt(0)
	s_barrier
	s_and_saveexec_b64 s[0:1], vcc
	s_cbranch_execz .LBB51_36
; %bb.35:
	ds_read_b64 v[2:3], v1
.LBB51_36:
	s_or_b64 exec, exec, s[0:1]
	s_waitcnt lgkmcnt(0)
	v_mov_b32_dpp v1, v2 row_shr:1 row_mask:0xf bank_mask:0xf
	v_add_co_u32_e32 v1, vcc, v2, v1
	v_addc_co_u32_e32 v2, vcc, 0, v3, vcc
	v_mov_b32_dpp v4, v3 row_shr:1 row_mask:0xf bank_mask:0xf
	v_add_co_u32_e32 v3, vcc, 0, v1
	v_addc_co_u32_e32 v2, vcc, v4, v2, vcc
	v_mov_b32_dpp v1, v1 row_shr:2 row_mask:0xf bank_mask:0xf
	v_add_co_u32_e32 v1, vcc, v3, v1
	v_mov_b32_dpp v4, v2 row_shr:2 row_mask:0xf bank_mask:0xf
	v_addc_co_u32_e32 v2, vcc, 0, v2, vcc
	v_add_co_u32_e32 v3, vcc, 0, v1
	v_addc_co_u32_e32 v2, vcc, v2, v4, vcc
	v_mov_b32_dpp v1, v1 row_shr:4 row_mask:0xf bank_mask:0xe
	s_nop 0
	v_mov_b32_dpp v4, v2 row_shr:4 row_mask:0xf bank_mask:0xe
	v_add_co_u32_e32 v1, vcc, v1, v3
	v_addc_co_u32_e32 v2, vcc, v4, v2, vcc
	s_nop 0
	v_mov_b32_dpp v3, v1 row_shr:8 row_mask:0xf bank_mask:0xc
	v_mov_b32_dpp v4, v2 row_shr:8 row_mask:0xf bank_mask:0xc
	v_add_co_u32_e32 v1, vcc, v3, v1
	v_addc_co_u32_e32 v2, vcc, v4, v2, vcc
	s_nop 0
	v_mov_b32_dpp v3, v1 row_bcast:15 row_mask:0xa bank_mask:0xf
	v_mov_b32_dpp v4, v2 row_bcast:15 row_mask:0xa bank_mask:0xf
	v_cmp_eq_u32_e32 vcc, 31, v0
	s_and_saveexec_b64 s[0:1], vcc
	s_cbranch_execz .LBB51_38
; %bb.37:
	s_load_dwordx2 s[0:1], s[4:5], 0x40
	s_lshl_b64 s[2:3], s[12:13], 3
	v_add_co_u32_e32 v0, vcc, v3, v1
	v_mov_b32_e32 v5, 0
	s_waitcnt lgkmcnt(0)
	s_add_u32 s0, s0, s2
	s_addc_u32 s1, s1, s3
	v_addc_co_u32_e32 v1, vcc, v4, v2, vcc
	global_store_dwordx2 v5, v[0:1], s[0:1]
.LBB51_38:
	s_endpgm
	.section	.rodata,"a",@progbits
	.p2align	6, 0x0
	.amdhsa_kernel _ZN9rocsparseL25csrgemm_nnz_block_per_rowILj1024ELj32ELj8192ELj79EllEEvPKT4_S3_PKT3_S3_S6_S3_S6_S3_PS4_21rocsparse_index_base_S8_S8_bb
		.amdhsa_group_segment_fixed_size 0
		.amdhsa_private_segment_fixed_size 0
		.amdhsa_kernarg_size 88
		.amdhsa_user_sgpr_count 6
		.amdhsa_user_sgpr_private_segment_buffer 1
		.amdhsa_user_sgpr_dispatch_ptr 0
		.amdhsa_user_sgpr_queue_ptr 0
		.amdhsa_user_sgpr_kernarg_segment_ptr 1
		.amdhsa_user_sgpr_dispatch_id 0
		.amdhsa_user_sgpr_flat_scratch_init 0
		.amdhsa_user_sgpr_kernarg_preload_length 0
		.amdhsa_user_sgpr_kernarg_preload_offset 0
		.amdhsa_user_sgpr_private_segment_size 0
		.amdhsa_uses_dynamic_stack 0
		.amdhsa_system_sgpr_private_segment_wavefront_offset 0
		.amdhsa_system_sgpr_workgroup_id_x 1
		.amdhsa_system_sgpr_workgroup_id_y 0
		.amdhsa_system_sgpr_workgroup_id_z 0
		.amdhsa_system_sgpr_workgroup_info 0
		.amdhsa_system_vgpr_workitem_id 0
		.amdhsa_next_free_vgpr 24
		.amdhsa_next_free_sgpr 44
		.amdhsa_accum_offset 24
		.amdhsa_reserve_vcc 1
		.amdhsa_reserve_flat_scratch 0
		.amdhsa_float_round_mode_32 0
		.amdhsa_float_round_mode_16_64 0
		.amdhsa_float_denorm_mode_32 3
		.amdhsa_float_denorm_mode_16_64 3
		.amdhsa_dx10_clamp 1
		.amdhsa_ieee_mode 1
		.amdhsa_fp16_overflow 0
		.amdhsa_tg_split 0
		.amdhsa_exception_fp_ieee_invalid_op 0
		.amdhsa_exception_fp_denorm_src 0
		.amdhsa_exception_fp_ieee_div_zero 0
		.amdhsa_exception_fp_ieee_overflow 0
		.amdhsa_exception_fp_ieee_underflow 0
		.amdhsa_exception_fp_ieee_inexact 0
		.amdhsa_exception_int_div_zero 0
	.end_amdhsa_kernel
	.section	.text._ZN9rocsparseL25csrgemm_nnz_block_per_rowILj1024ELj32ELj8192ELj79EllEEvPKT4_S3_PKT3_S3_S6_S3_S6_S3_PS4_21rocsparse_index_base_S8_S8_bb,"axG",@progbits,_ZN9rocsparseL25csrgemm_nnz_block_per_rowILj1024ELj32ELj8192ELj79EllEEvPKT4_S3_PKT3_S3_S6_S3_S6_S3_PS4_21rocsparse_index_base_S8_S8_bb,comdat
.Lfunc_end51:
	.size	_ZN9rocsparseL25csrgemm_nnz_block_per_rowILj1024ELj32ELj8192ELj79EllEEvPKT4_S3_PKT3_S3_S6_S3_S6_S3_PS4_21rocsparse_index_base_S8_S8_bb, .Lfunc_end51-_ZN9rocsparseL25csrgemm_nnz_block_per_rowILj1024ELj32ELj8192ELj79EllEEvPKT4_S3_PKT3_S3_S6_S3_S6_S3_PS4_21rocsparse_index_base_S8_S8_bb
                                        ; -- End function
	.section	.AMDGPU.csdata,"",@progbits
; Kernel info:
; codeLenInByte = 1688
; NumSgprs: 48
; NumVgprs: 24
; NumAgprs: 0
; TotalNumVgprs: 24
; ScratchSize: 0
; MemoryBound: 0
; FloatMode: 240
; IeeeMode: 1
; LDSByteSize: 0 bytes/workgroup (compile time only)
; SGPRBlocks: 5
; VGPRBlocks: 2
; NumSGPRsForWavesPerEU: 48
; NumVGPRsForWavesPerEU: 24
; AccumOffset: 24
; Occupancy: 8
; WaveLimiterHint : 1
; COMPUTE_PGM_RSRC2:SCRATCH_EN: 0
; COMPUTE_PGM_RSRC2:USER_SGPR: 6
; COMPUTE_PGM_RSRC2:TRAP_HANDLER: 0
; COMPUTE_PGM_RSRC2:TGID_X_EN: 1
; COMPUTE_PGM_RSRC2:TGID_Y_EN: 0
; COMPUTE_PGM_RSRC2:TGID_Z_EN: 0
; COMPUTE_PGM_RSRC2:TIDIG_COMP_CNT: 0
; COMPUTE_PGM_RSRC3_GFX90A:ACCUM_OFFSET: 5
; COMPUTE_PGM_RSRC3_GFX90A:TG_SPLIT: 0
	.section	.text._ZN9rocsparseL25csrgemm_nnz_block_per_rowILj1024ELj32ELj16384ELj79EllEEvPKT4_S3_PKT3_S3_S6_S3_S6_S3_PS4_21rocsparse_index_base_S8_S8_bb,"axG",@progbits,_ZN9rocsparseL25csrgemm_nnz_block_per_rowILj1024ELj32ELj16384ELj79EllEEvPKT4_S3_PKT3_S3_S6_S3_S6_S3_PS4_21rocsparse_index_base_S8_S8_bb,comdat
	.globl	_ZN9rocsparseL25csrgemm_nnz_block_per_rowILj1024ELj32ELj16384ELj79EllEEvPKT4_S3_PKT3_S3_S6_S3_S6_S3_PS4_21rocsparse_index_base_S8_S8_bb ; -- Begin function _ZN9rocsparseL25csrgemm_nnz_block_per_rowILj1024ELj32ELj16384ELj79EllEEvPKT4_S3_PKT3_S3_S6_S3_S6_S3_PS4_21rocsparse_index_base_S8_S8_bb
	.p2align	8
	.type	_ZN9rocsparseL25csrgemm_nnz_block_per_rowILj1024ELj32ELj16384ELj79EllEEvPKT4_S3_PKT3_S3_S6_S3_S6_S3_PS4_21rocsparse_index_base_S8_S8_bb,@function
_ZN9rocsparseL25csrgemm_nnz_block_per_rowILj1024ELj32ELj16384ELj79EllEEvPKT4_S3_PKT3_S3_S6_S3_S6_S3_PS4_21rocsparse_index_base_S8_S8_bb: ; @_ZN9rocsparseL25csrgemm_nnz_block_per_rowILj1024ELj32ELj16384ELj79EllEEvPKT4_S3_PKT3_S3_S6_S3_S6_S3_PS4_21rocsparse_index_base_S8_S8_bb
; %bb.0:
	s_load_dwordx8 s[16:23], s[4:5], 0x0
	s_mov_b32 s7, 0
	v_mov_b32_e32 v2, -1
	v_or_b32_e32 v1, 0xfffffc00, v0
	v_lshl_add_u32 v4, v0, 3, 0
	s_waitcnt lgkmcnt(0)
	s_load_dwordx2 s[0:1], s[16:17], 0x0
	s_nop 0
	s_load_dwordx2 s[16:17], s[4:5], 0x40
	s_load_dwordx8 s[8:15], s[4:5], 0x20
	v_mov_b32_e32 v3, v2
	s_waitcnt lgkmcnt(0)
	s_lshl_b64 s[0:1], s[0:1], 3
	s_add_u32 s2, s18, s0
	s_addc_u32 s3, s19, s1
	s_lshl_b64 s[0:1], s[6:7], 3
	s_add_u32 s0, s2, s0
	s_addc_u32 s1, s3, s1
	s_load_dwordx2 s[6:7], s[0:1], 0x0
	s_mov_b64 s[0:1], 0
	s_movk_i32 s2, 0x3bff
.LBB52_1:                               ; =>This Inner Loop Header: Depth=1
	v_add_u32_e32 v1, 0x400, v1
	v_cmp_lt_u32_e32 vcc, s2, v1
	ds_write_b64 v4, v[2:3]
	s_or_b64 s[0:1], vcc, s[0:1]
	v_add_u32_e32 v4, 0x2000, v4
	s_andn2_b64 exec, exec, s[0:1]
	s_cbranch_execnz .LBB52_1
; %bb.2:
	s_or_b64 exec, exec, s[0:1]
	s_load_dwordx4 s[0:3], s[4:5], 0x48
	v_and_b32_e32 v13, 31, v0
	v_lshrrev_b32_e32 v1, 5, v0
	v_pk_mov_b32 v[2:3], 0, 0
	s_waitcnt lgkmcnt(0)
	s_bitcmp1_b32 s3, 0
	s_cselect_b64 s[18:19], -1, 0
	s_and_b64 vcc, exec, s[18:19]
	s_barrier
	s_cbranch_vccz .LBB52_20
; %bb.3:
	s_lshl_b64 s[18:19], s[6:7], 3
	s_add_u32 s18, s20, s18
	s_addc_u32 s19, s21, s19
	s_load_dwordx4 s[28:31], s[18:19], 0x0
	v_subrev_co_u32_e32 v2, vcc, s0, v1
	v_subb_co_u32_e64 v3, s[20:21], 0, 0, vcc
	s_waitcnt lgkmcnt(0)
	s_sub_u32 s18, s30, s0
	v_mov_b32_e32 v5, s29
	v_add_co_u32_e32 v4, vcc, s28, v2
	s_subb_u32 s19, s31, 0
	v_addc_co_u32_e32 v5, vcc, v3, v5, vcc
	s_mov_b32 s26, 0
	v_cmp_gt_i64_e32 vcc, s[18:19], v[4:5]
	v_pk_mov_b32 v[2:3], 0, 0
	s_and_saveexec_b64 s[20:21], vcc
	s_cbranch_execz .LBB52_19
; %bb.4:
	v_subrev_co_u32_e32 v16, vcc, s1, v13
	s_mov_b32 s3, s0
	s_mov_b32 s33, s1
	v_subb_co_u32_e64 v17, s[0:1], 0, 0, vcc
	s_mov_b64 s[24:25], 0
	v_pk_mov_b32 v[2:3], 0, 0
	v_mov_b32_e32 v18, s23
	v_mov_b32_e32 v19, s26
	;; [unrolled: 1-line block ×4, first 2 shown]
	s_movk_i32 s9, 0x4f
	s_branch .LBB52_7
.LBB52_5:                               ;   in Loop: Header=BB52_7 Depth=1
	s_or_b64 exec, exec, s[28:29]
.LBB52_6:                               ;   in Loop: Header=BB52_7 Depth=1
	s_or_b64 exec, exec, s[26:27]
	v_add_co_u32_e32 v4, vcc, 32, v4
	v_addc_co_u32_e32 v5, vcc, 0, v5, vcc
	v_cmp_le_i64_e32 vcc, s[18:19], v[4:5]
	s_or_b64 s[24:25], vcc, s[24:25]
	s_andn2_b64 exec, exec, s[24:25]
	s_cbranch_execz .LBB52_18
.LBB52_7:                               ; =>This Loop Header: Depth=1
                                        ;     Child Loop BB52_10 Depth 2
                                        ;       Child Loop BB52_13 Depth 3
	v_lshlrev_b64 v[6:7], 3, v[4:5]
	v_add_co_u32_e32 v6, vcc, s22, v6
	v_addc_co_u32_e32 v7, vcc, v18, v7, vcc
	global_load_dwordx2 v[6:7], v[6:7], off
	s_waitcnt vmcnt(0)
	v_subrev_co_u32_e32 v6, vcc, s3, v6
	v_subb_co_u32_e32 v7, vcc, v7, v19, vcc
	v_lshlrev_b64 v[6:7], 3, v[6:7]
	v_add_co_u32_e32 v6, vcc, s8, v6
	v_addc_co_u32_e32 v7, vcc, v20, v7, vcc
	global_load_dwordx4 v[8:11], v[6:7], off
	s_waitcnt vmcnt(0)
	v_subrev_co_u32_e32 v6, vcc, s33, v10
	v_subb_co_u32_e32 v7, vcc, v11, v21, vcc
	v_add_co_u32_e32 v8, vcc, v16, v8
	v_addc_co_u32_e32 v9, vcc, v17, v9, vcc
	v_cmp_lt_i64_e32 vcc, v[8:9], v[6:7]
	s_and_saveexec_b64 s[26:27], vcc
	s_cbranch_execz .LBB52_6
; %bb.8:                                ;   in Loop: Header=BB52_7 Depth=1
	s_mov_b64 s[28:29], 0
	s_branch .LBB52_10
.LBB52_9:                               ;   in Loop: Header=BB52_10 Depth=2
	s_or_b64 exec, exec, s[38:39]
	v_add_co_u32_e32 v8, vcc, 32, v8
	v_addc_co_u32_e32 v9, vcc, 0, v9, vcc
	v_cndmask_b32_e64 v10, 0, 1, s[30:31]
	v_cmp_ge_i64_e32 vcc, v[8:9], v[6:7]
	s_or_b64 s[28:29], vcc, s[28:29]
	v_add_co_u32_e32 v2, vcc, v2, v10
	v_addc_co_u32_e32 v3, vcc, 0, v3, vcc
	s_andn2_b64 exec, exec, s[28:29]
	s_cbranch_execz .LBB52_5
.LBB52_10:                              ;   Parent Loop BB52_7 Depth=1
                                        ; =>  This Loop Header: Depth=2
                                        ;       Child Loop BB52_13 Depth 3
	v_lshlrev_b64 v[10:11], 3, v[8:9]
	v_mov_b32_e32 v12, s11
	v_add_co_u32_e32 v10, vcc, s10, v10
	v_addc_co_u32_e32 v11, vcc, v12, v11, vcc
	global_load_dwordx2 v[10:11], v[10:11], off
	s_mov_b64 s[38:39], 0
                                        ; implicit-def: $sgpr30_sgpr31
                                        ; implicit-def: $sgpr34_sgpr35
                                        ; implicit-def: $sgpr36_sgpr37
                                        ; implicit-def: $sgpr40_sgpr41
	s_waitcnt vmcnt(0)
	v_subrev_co_u32_e32 v10, vcc, s33, v10
	v_mul_lo_u32 v12, v10, s9
	v_subb_co_u32_e32 v11, vcc, v11, v21, vcc
	v_and_b32_e32 v12, 0x3fff, v12
	s_branch .LBB52_13
.LBB52_11:                              ;   in Loop: Header=BB52_13 Depth=3
	s_or_b64 exec, exec, s[46:47]
	s_andn2_b64 s[36:37], s[36:37], exec
	s_and_b64 s[40:41], s[44:45], exec
	s_andn2_b64 s[34:35], s[34:35], exec
	s_and_b64 s[0:1], s[0:1], exec
	s_or_b64 s[36:37], s[36:37], s[40:41]
	s_or_b64 s[34:35], s[34:35], s[0:1]
                                        ; implicit-def: $sgpr40_sgpr41
.LBB52_12:                              ;   in Loop: Header=BB52_13 Depth=3
	s_or_b64 exec, exec, s[42:43]
	s_xor_b64 s[0:1], s[34:35], -1
	s_and_b64 s[0:1], exec, s[0:1]
	s_or_b64 s[38:39], s[0:1], s[38:39]
	s_andn2_b64 s[0:1], s[40:41], exec
	s_and_b64 s[42:43], s[36:37], exec
	s_or_b64 s[40:41], s[0:1], s[42:43]
	s_andn2_b64 s[0:1], s[30:31], exec
	s_or_b64 s[30:31], s[0:1], s[42:43]
	s_andn2_b64 exec, exec, s[38:39]
	s_cbranch_execz .LBB52_9
.LBB52_13:                              ;   Parent Loop BB52_7 Depth=1
                                        ;     Parent Loop BB52_10 Depth=2
                                        ; =>    This Inner Loop Header: Depth=3
	v_lshl_add_u32 v22, v12, 3, 0
	ds_read_b64 v[14:15], v22
	s_andn2_b64 s[36:37], s[36:37], exec
	s_andn2_b64 s[34:35], s[34:35], exec
	s_waitcnt lgkmcnt(0)
	v_cmp_ne_u64_e32 vcc, v[14:15], v[10:11]
	s_and_saveexec_b64 s[42:43], vcc
	s_cbranch_execz .LBB52_12
; %bb.14:                               ;   in Loop: Header=BB52_13 Depth=3
	v_cmp_ne_u64_e32 vcc, -1, v[14:15]
                                        ; implicit-def: $sgpr44_sgpr45
                                        ; implicit-def: $sgpr0_sgpr1
	s_and_saveexec_b64 s[46:47], vcc
	s_xor_b64 s[46:47], exec, s[46:47]
; %bb.15:                               ;   in Loop: Header=BB52_13 Depth=3
	v_add_u32_e32 v12, 1, v12
	v_and_b32_e32 v12, 0x3fff, v12
	s_mov_b64 s[0:1], -1
	s_and_b64 s[44:45], s[40:41], exec
                                        ; implicit-def: $vgpr22
; %bb.16:                               ;   in Loop: Header=BB52_13 Depth=3
	s_andn2_saveexec_b64 s[46:47], s[46:47]
	s_cbranch_execz .LBB52_11
; %bb.17:                               ;   in Loop: Header=BB52_13 Depth=3
	v_pk_mov_b32 v[14:15], -1, -1
	ds_cmpst_rtn_b64 v[14:15], v22, v[14:15], v[10:11]
	s_andn2_b64 s[48:49], s[0:1], exec
	s_andn2_b64 s[44:45], s[44:45], exec
	s_waitcnt lgkmcnt(0)
	v_cmp_eq_u64_e64 s[0:1], -1, v[14:15]
	v_cmp_ne_u64_e32 vcc, -1, v[14:15]
	s_or_b64 s[40:41], s[0:1], s[40:41]
	s_and_b64 s[0:1], vcc, exec
	s_and_b64 s[40:41], s[40:41], exec
	s_or_b64 s[0:1], s[48:49], s[0:1]
	s_or_b64 s[44:45], s[44:45], s[40:41]
	s_branch .LBB52_11
.LBB52_18:
	s_or_b64 exec, exec, s[24:25]
.LBB52_19:
	s_or_b64 exec, exec, s[20:21]
.LBB52_20:
	s_load_dword s0, s[4:5], 0x54
	s_waitcnt lgkmcnt(0)
	s_bfe_u32 s0, s0, 0x10008
	s_cmp_eq_u32 s0, 0
	s_mov_b32 s0, 0
	s_cbranch_scc1 .LBB52_34
; %bb.21:
	s_lshl_b64 s[4:5], s[6:7], 3
	s_add_u32 s4, s12, s4
	s_addc_u32 s5, s13, s5
	s_load_dwordx4 s[8:11], s[4:5], 0x0
	v_subrev_co_u32_e32 v4, vcc, s2, v1
	v_subb_co_u32_e64 v5, s[4:5], 0, 0, vcc
	s_waitcnt lgkmcnt(0)
	s_sub_u32 s4, s10, s2
	v_mov_b32_e32 v6, s9
	v_add_co_u32_e32 v4, vcc, s8, v4
	s_subb_u32 s5, s11, 0
	v_addc_co_u32_e32 v5, vcc, v5, v6, vcc
	v_cmp_gt_i64_e32 vcc, s[4:5], v[4:5]
	s_and_saveexec_b64 s[8:9], vcc
	s_cbranch_execz .LBB52_33
; %bb.22:
	s_mov_b64 s[10:11], 0
	v_mov_b32_e32 v9, s15
	v_mov_b32_e32 v12, s0
	s_movk_i32 s3, 0x4f
	s_branch .LBB52_24
.LBB52_23:                              ;   in Loop: Header=BB52_24 Depth=1
	s_or_b64 exec, exec, s[22:23]
	v_add_co_u32_e32 v4, vcc, 32, v4
	v_addc_co_u32_e32 v5, vcc, 0, v5, vcc
	v_cndmask_b32_e64 v6, 0, 1, s[12:13]
	v_cmp_le_i64_e32 vcc, s[4:5], v[4:5]
	s_or_b64 s[10:11], vcc, s[10:11]
	v_add_co_u32_e32 v2, vcc, v2, v6
	v_addc_co_u32_e32 v3, vcc, 0, v3, vcc
	s_andn2_b64 exec, exec, s[10:11]
	s_cbranch_execz .LBB52_32
.LBB52_24:                              ; =>This Loop Header: Depth=1
                                        ;     Child Loop BB52_27 Depth 2
	v_lshlrev_b64 v[6:7], 3, v[4:5]
	v_add_co_u32_e32 v6, vcc, s14, v6
	v_addc_co_u32_e32 v7, vcc, v9, v7, vcc
	global_load_dwordx2 v[6:7], v[6:7], off
	s_mov_b64 s[22:23], 0
                                        ; implicit-def: $sgpr12_sgpr13
                                        ; implicit-def: $sgpr18_sgpr19
                                        ; implicit-def: $sgpr20_sgpr21
                                        ; implicit-def: $sgpr24_sgpr25
	s_waitcnt vmcnt(0)
	v_subrev_co_u32_e32 v6, vcc, s2, v6
	v_mul_lo_u32 v8, v6, s3
	v_subb_co_u32_e32 v7, vcc, v7, v12, vcc
	v_and_b32_e32 v8, 0x3fff, v8
	s_branch .LBB52_27
.LBB52_25:                              ;   in Loop: Header=BB52_27 Depth=2
	s_or_b64 exec, exec, s[30:31]
	s_andn2_b64 s[20:21], s[20:21], exec
	s_and_b64 s[24:25], s[28:29], exec
	s_andn2_b64 s[18:19], s[18:19], exec
	s_and_b64 s[0:1], s[0:1], exec
	s_or_b64 s[20:21], s[20:21], s[24:25]
	s_or_b64 s[18:19], s[18:19], s[0:1]
                                        ; implicit-def: $sgpr24_sgpr25
.LBB52_26:                              ;   in Loop: Header=BB52_27 Depth=2
	s_or_b64 exec, exec, s[26:27]
	s_xor_b64 s[0:1], s[18:19], -1
	s_and_b64 s[0:1], exec, s[0:1]
	s_or_b64 s[22:23], s[0:1], s[22:23]
	s_andn2_b64 s[0:1], s[24:25], exec
	s_and_b64 s[26:27], s[20:21], exec
	s_or_b64 s[24:25], s[0:1], s[26:27]
	s_andn2_b64 s[0:1], s[12:13], exec
	s_or_b64 s[12:13], s[0:1], s[26:27]
	s_andn2_b64 exec, exec, s[22:23]
	s_cbranch_execz .LBB52_23
.LBB52_27:                              ;   Parent Loop BB52_24 Depth=1
                                        ; =>  This Inner Loop Header: Depth=2
	v_lshl_add_u32 v14, v8, 3, 0
	ds_read_b64 v[10:11], v14
	s_andn2_b64 s[20:21], s[20:21], exec
	s_andn2_b64 s[18:19], s[18:19], exec
	s_waitcnt lgkmcnt(0)
	v_cmp_ne_u64_e32 vcc, v[10:11], v[6:7]
	s_and_saveexec_b64 s[26:27], vcc
	s_cbranch_execz .LBB52_26
; %bb.28:                               ;   in Loop: Header=BB52_27 Depth=2
	v_cmp_ne_u64_e32 vcc, -1, v[10:11]
                                        ; implicit-def: $sgpr28_sgpr29
                                        ; implicit-def: $sgpr0_sgpr1
	s_and_saveexec_b64 s[30:31], vcc
	s_xor_b64 s[30:31], exec, s[30:31]
; %bb.29:                               ;   in Loop: Header=BB52_27 Depth=2
	v_add_u32_e32 v8, 1, v8
	v_and_b32_e32 v8, 0x3fff, v8
	s_mov_b64 s[0:1], -1
	s_and_b64 s[28:29], s[24:25], exec
                                        ; implicit-def: $vgpr14
; %bb.30:                               ;   in Loop: Header=BB52_27 Depth=2
	s_andn2_saveexec_b64 s[30:31], s[30:31]
	s_cbranch_execz .LBB52_25
; %bb.31:                               ;   in Loop: Header=BB52_27 Depth=2
	v_pk_mov_b32 v[10:11], -1, -1
	ds_cmpst_rtn_b64 v[10:11], v14, v[10:11], v[6:7]
	s_andn2_b64 s[34:35], s[0:1], exec
	s_andn2_b64 s[28:29], s[28:29], exec
	s_waitcnt lgkmcnt(0)
	v_cmp_eq_u64_e64 s[0:1], -1, v[10:11]
	v_cmp_ne_u64_e32 vcc, -1, v[10:11]
	s_or_b64 s[24:25], s[0:1], s[24:25]
	s_and_b64 s[0:1], vcc, exec
	s_and_b64 s[24:25], s[24:25], exec
	s_or_b64 s[0:1], s[34:35], s[0:1]
	s_or_b64 s[28:29], s[28:29], s[24:25]
	s_branch .LBB52_25
.LBB52_32:
	s_or_b64 exec, exec, s[10:11]
.LBB52_33:
	s_or_b64 exec, exec, s[8:9]
.LBB52_34:
	v_mov_b32_dpp v4, v2 row_shr:1 row_mask:0xf bank_mask:0xf
	v_add_co_u32_e32 v2, vcc, v2, v4
	v_mov_b32_dpp v5, v3 row_shr:1 row_mask:0xf bank_mask:0xf
	v_addc_co_u32_e32 v3, vcc, 0, v3, vcc
	v_add_co_u32_e32 v4, vcc, 0, v2
	v_addc_co_u32_e32 v3, vcc, v5, v3, vcc
	v_mov_b32_dpp v2, v2 row_shr:2 row_mask:0xf bank_mask:0xf
	v_add_co_u32_e32 v2, vcc, v4, v2
	v_mov_b32_dpp v5, v3 row_shr:2 row_mask:0xf bank_mask:0xf
	v_addc_co_u32_e32 v3, vcc, 0, v3, vcc
	v_add_co_u32_e32 v4, vcc, 0, v2
	v_addc_co_u32_e32 v3, vcc, v3, v5, vcc
	v_mov_b32_dpp v2, v2 row_shr:4 row_mask:0xf bank_mask:0xe
	s_nop 0
	v_mov_b32_dpp v5, v3 row_shr:4 row_mask:0xf bank_mask:0xe
	v_add_co_u32_e32 v2, vcc, v2, v4
	v_addc_co_u32_e32 v3, vcc, v5, v3, vcc
	s_nop 0
	v_mov_b32_dpp v4, v2 row_shr:8 row_mask:0xf bank_mask:0xc
	v_mov_b32_dpp v5, v3 row_shr:8 row_mask:0xf bank_mask:0xc
	v_add_co_u32_e32 v2, vcc, v4, v2
	v_addc_co_u32_e32 v3, vcc, v5, v3, vcc
	s_nop 0
	v_mov_b32_dpp v4, v2 row_bcast:15 row_mask:0xa bank_mask:0xf
	v_mov_b32_dpp v5, v3 row_bcast:15 row_mask:0xa bank_mask:0xf
	v_cmp_eq_u32_e32 vcc, 31, v13
	s_barrier
	s_and_saveexec_b64 s[0:1], vcc
	s_cbranch_execz .LBB52_36
; %bb.35:
	v_add_co_u32_e32 v2, vcc, v4, v2
	v_lshl_add_u32 v1, v1, 3, 0
	v_addc_co_u32_e32 v3, vcc, v5, v3, vcc
	ds_write_b64 v1, v[2:3]
.LBB52_36:
	s_or_b64 exec, exec, s[0:1]
	v_cmp_gt_u32_e32 vcc, 32, v0
	v_pk_mov_b32 v[2:3], 0, 0
	s_waitcnt lgkmcnt(0)
	s_barrier
	s_and_saveexec_b64 s[0:1], vcc
	s_cbranch_execz .LBB52_38
; %bb.37:
	v_lshl_add_u32 v1, v0, 3, 0
	ds_read_b64 v[2:3], v1
.LBB52_38:
	s_or_b64 exec, exec, s[0:1]
	s_waitcnt lgkmcnt(0)
	v_mov_b32_dpp v1, v2 row_shr:1 row_mask:0xf bank_mask:0xf
	v_add_co_u32_e32 v1, vcc, v2, v1
	v_addc_co_u32_e32 v2, vcc, 0, v3, vcc
	v_mov_b32_dpp v4, v3 row_shr:1 row_mask:0xf bank_mask:0xf
	v_add_co_u32_e32 v3, vcc, 0, v1
	v_addc_co_u32_e32 v2, vcc, v4, v2, vcc
	v_mov_b32_dpp v1, v1 row_shr:2 row_mask:0xf bank_mask:0xf
	v_add_co_u32_e32 v1, vcc, v3, v1
	v_mov_b32_dpp v4, v2 row_shr:2 row_mask:0xf bank_mask:0xf
	v_addc_co_u32_e32 v2, vcc, 0, v2, vcc
	v_add_co_u32_e32 v3, vcc, 0, v1
	v_addc_co_u32_e32 v2, vcc, v2, v4, vcc
	v_mov_b32_dpp v1, v1 row_shr:4 row_mask:0xf bank_mask:0xe
	s_nop 0
	v_mov_b32_dpp v4, v2 row_shr:4 row_mask:0xf bank_mask:0xe
	v_add_co_u32_e32 v1, vcc, v1, v3
	v_addc_co_u32_e32 v2, vcc, v4, v2, vcc
	s_nop 0
	v_mov_b32_dpp v3, v1 row_shr:8 row_mask:0xf bank_mask:0xc
	v_mov_b32_dpp v4, v2 row_shr:8 row_mask:0xf bank_mask:0xc
	v_add_co_u32_e32 v1, vcc, v3, v1
	v_addc_co_u32_e32 v2, vcc, v4, v2, vcc
	s_nop 0
	v_mov_b32_dpp v3, v1 row_bcast:15 row_mask:0xa bank_mask:0xf
	v_mov_b32_dpp v4, v2 row_bcast:15 row_mask:0xa bank_mask:0xf
	v_cmp_eq_u32_e32 vcc, 31, v0
	s_and_saveexec_b64 s[0:1], vcc
	s_cbranch_execz .LBB52_40
; %bb.39:
	s_lshl_b64 s[0:1], s[6:7], 3
	s_add_u32 s0, s16, s0
	v_add_co_u32_e32 v0, vcc, v3, v1
	s_addc_u32 s1, s17, s1
	v_mov_b32_e32 v5, 0
	v_addc_co_u32_e32 v1, vcc, v4, v2, vcc
	global_store_dwordx2 v5, v[0:1], s[0:1]
.LBB52_40:
	s_endpgm
	.section	.rodata,"a",@progbits
	.p2align	6, 0x0
	.amdhsa_kernel _ZN9rocsparseL25csrgemm_nnz_block_per_rowILj1024ELj32ELj16384ELj79EllEEvPKT4_S3_PKT3_S3_S6_S3_S6_S3_PS4_21rocsparse_index_base_S8_S8_bb
		.amdhsa_group_segment_fixed_size 0
		.amdhsa_private_segment_fixed_size 0
		.amdhsa_kernarg_size 88
		.amdhsa_user_sgpr_count 6
		.amdhsa_user_sgpr_private_segment_buffer 1
		.amdhsa_user_sgpr_dispatch_ptr 0
		.amdhsa_user_sgpr_queue_ptr 0
		.amdhsa_user_sgpr_kernarg_segment_ptr 1
		.amdhsa_user_sgpr_dispatch_id 0
		.amdhsa_user_sgpr_flat_scratch_init 0
		.amdhsa_user_sgpr_kernarg_preload_length 0
		.amdhsa_user_sgpr_kernarg_preload_offset 0
		.amdhsa_user_sgpr_private_segment_size 0
		.amdhsa_uses_dynamic_stack 0
		.amdhsa_system_sgpr_private_segment_wavefront_offset 0
		.amdhsa_system_sgpr_workgroup_id_x 1
		.amdhsa_system_sgpr_workgroup_id_y 0
		.amdhsa_system_sgpr_workgroup_id_z 0
		.amdhsa_system_sgpr_workgroup_info 0
		.amdhsa_system_vgpr_workitem_id 0
		.amdhsa_next_free_vgpr 23
		.amdhsa_next_free_sgpr 50
		.amdhsa_accum_offset 24
		.amdhsa_reserve_vcc 1
		.amdhsa_reserve_flat_scratch 0
		.amdhsa_float_round_mode_32 0
		.amdhsa_float_round_mode_16_64 0
		.amdhsa_float_denorm_mode_32 3
		.amdhsa_float_denorm_mode_16_64 3
		.amdhsa_dx10_clamp 1
		.amdhsa_ieee_mode 1
		.amdhsa_fp16_overflow 0
		.amdhsa_tg_split 0
		.amdhsa_exception_fp_ieee_invalid_op 0
		.amdhsa_exception_fp_denorm_src 0
		.amdhsa_exception_fp_ieee_div_zero 0
		.amdhsa_exception_fp_ieee_overflow 0
		.amdhsa_exception_fp_ieee_underflow 0
		.amdhsa_exception_fp_ieee_inexact 0
		.amdhsa_exception_int_div_zero 0
	.end_amdhsa_kernel
	.section	.text._ZN9rocsparseL25csrgemm_nnz_block_per_rowILj1024ELj32ELj16384ELj79EllEEvPKT4_S3_PKT3_S3_S6_S3_S6_S3_PS4_21rocsparse_index_base_S8_S8_bb,"axG",@progbits,_ZN9rocsparseL25csrgemm_nnz_block_per_rowILj1024ELj32ELj16384ELj79EllEEvPKT4_S3_PKT3_S3_S6_S3_S6_S3_PS4_21rocsparse_index_base_S8_S8_bb,comdat
.Lfunc_end52:
	.size	_ZN9rocsparseL25csrgemm_nnz_block_per_rowILj1024ELj32ELj16384ELj79EllEEvPKT4_S3_PKT3_S3_S6_S3_S6_S3_PS4_21rocsparse_index_base_S8_S8_bb, .Lfunc_end52-_ZN9rocsparseL25csrgemm_nnz_block_per_rowILj1024ELj32ELj16384ELj79EllEEvPKT4_S3_PKT3_S3_S6_S3_S6_S3_PS4_21rocsparse_index_base_S8_S8_bb
                                        ; -- End function
	.section	.AMDGPU.csdata,"",@progbits
; Kernel info:
; codeLenInByte = 1676
; NumSgprs: 54
; NumVgprs: 23
; NumAgprs: 0
; TotalNumVgprs: 23
; ScratchSize: 0
; MemoryBound: 0
; FloatMode: 240
; IeeeMode: 1
; LDSByteSize: 0 bytes/workgroup (compile time only)
; SGPRBlocks: 6
; VGPRBlocks: 2
; NumSGPRsForWavesPerEU: 54
; NumVGPRsForWavesPerEU: 23
; AccumOffset: 24
; Occupancy: 8
; WaveLimiterHint : 1
; COMPUTE_PGM_RSRC2:SCRATCH_EN: 0
; COMPUTE_PGM_RSRC2:USER_SGPR: 6
; COMPUTE_PGM_RSRC2:TRAP_HANDLER: 0
; COMPUTE_PGM_RSRC2:TGID_X_EN: 1
; COMPUTE_PGM_RSRC2:TGID_Y_EN: 0
; COMPUTE_PGM_RSRC2:TGID_Z_EN: 0
; COMPUTE_PGM_RSRC2:TIDIG_COMP_CNT: 0
; COMPUTE_PGM_RSRC3_GFX90A:ACCUM_OFFSET: 5
; COMPUTE_PGM_RSRC3_GFX90A:TG_SPLIT: 0
	.section	.text._ZN9rocsparseL25csrgemm_nnz_block_per_rowILj1024ELj32ELj32768ELj79EllEEvPKT4_S3_PKT3_S3_S6_S3_S6_S3_PS4_21rocsparse_index_base_S8_S8_bb,"axG",@progbits,_ZN9rocsparseL25csrgemm_nnz_block_per_rowILj1024ELj32ELj32768ELj79EllEEvPKT4_S3_PKT3_S3_S6_S3_S6_S3_PS4_21rocsparse_index_base_S8_S8_bb,comdat
	.globl	_ZN9rocsparseL25csrgemm_nnz_block_per_rowILj1024ELj32ELj32768ELj79EllEEvPKT4_S3_PKT3_S3_S6_S3_S6_S3_PS4_21rocsparse_index_base_S8_S8_bb ; -- Begin function _ZN9rocsparseL25csrgemm_nnz_block_per_rowILj1024ELj32ELj32768ELj79EllEEvPKT4_S3_PKT3_S3_S6_S3_S6_S3_PS4_21rocsparse_index_base_S8_S8_bb
	.p2align	8
	.type	_ZN9rocsparseL25csrgemm_nnz_block_per_rowILj1024ELj32ELj32768ELj79EllEEvPKT4_S3_PKT3_S3_S6_S3_S6_S3_PS4_21rocsparse_index_base_S8_S8_bb,@function
_ZN9rocsparseL25csrgemm_nnz_block_per_rowILj1024ELj32ELj32768ELj79EllEEvPKT4_S3_PKT3_S3_S6_S3_S6_S3_PS4_21rocsparse_index_base_S8_S8_bb: ; @_ZN9rocsparseL25csrgemm_nnz_block_per_rowILj1024ELj32ELj32768ELj79EllEEvPKT4_S3_PKT3_S3_S6_S3_S6_S3_PS4_21rocsparse_index_base_S8_S8_bb
; %bb.0:
	s_load_dwordx8 s[16:23], s[4:5], 0x0
	s_mov_b32 s7, 0
	v_mov_b32_e32 v2, -1
	v_or_b32_e32 v1, 0xfffffc00, v0
	v_lshl_add_u32 v4, v0, 3, 0
	s_waitcnt lgkmcnt(0)
	s_load_dwordx2 s[0:1], s[16:17], 0x0
	s_nop 0
	s_load_dwordx2 s[16:17], s[4:5], 0x40
	s_load_dwordx8 s[8:15], s[4:5], 0x20
	v_mov_b32_e32 v3, v2
	s_waitcnt lgkmcnt(0)
	s_lshl_b64 s[0:1], s[0:1], 3
	s_add_u32 s2, s18, s0
	s_addc_u32 s3, s19, s1
	s_lshl_b64 s[0:1], s[6:7], 3
	s_add_u32 s0, s2, s0
	s_addc_u32 s1, s3, s1
	s_load_dwordx2 s[6:7], s[0:1], 0x0
	s_mov_b64 s[0:1], 0
	s_movk_i32 s2, 0x7bff
.LBB53_1:                               ; =>This Inner Loop Header: Depth=1
	v_add_u32_e32 v1, 0x400, v1
	v_cmp_lt_u32_e32 vcc, s2, v1
	ds_write_b64 v4, v[2:3]
	s_or_b64 s[0:1], vcc, s[0:1]
	v_add_u32_e32 v4, 0x2000, v4
	s_andn2_b64 exec, exec, s[0:1]
	s_cbranch_execnz .LBB53_1
; %bb.2:
	s_or_b64 exec, exec, s[0:1]
	s_load_dwordx4 s[0:3], s[4:5], 0x48
	v_and_b32_e32 v13, 31, v0
	v_lshrrev_b32_e32 v1, 5, v0
	v_pk_mov_b32 v[2:3], 0, 0
	s_waitcnt lgkmcnt(0)
	s_bitcmp1_b32 s3, 0
	s_cselect_b64 s[18:19], -1, 0
	s_and_b64 vcc, exec, s[18:19]
	s_barrier
	s_cbranch_vccz .LBB53_20
; %bb.3:
	s_lshl_b64 s[18:19], s[6:7], 3
	s_add_u32 s18, s20, s18
	s_addc_u32 s19, s21, s19
	s_load_dwordx4 s[28:31], s[18:19], 0x0
	v_subrev_co_u32_e32 v2, vcc, s0, v1
	v_subb_co_u32_e64 v3, s[20:21], 0, 0, vcc
	s_waitcnt lgkmcnt(0)
	s_sub_u32 s18, s30, s0
	v_mov_b32_e32 v5, s29
	v_add_co_u32_e32 v4, vcc, s28, v2
	s_subb_u32 s19, s31, 0
	v_addc_co_u32_e32 v5, vcc, v3, v5, vcc
	s_mov_b32 s26, 0
	v_cmp_gt_i64_e32 vcc, s[18:19], v[4:5]
	v_pk_mov_b32 v[2:3], 0, 0
	s_and_saveexec_b64 s[20:21], vcc
	s_cbranch_execz .LBB53_19
; %bb.4:
	v_subrev_co_u32_e32 v16, vcc, s1, v13
	s_mov_b32 s3, s0
	s_mov_b32 s33, s1
	v_subb_co_u32_e64 v17, s[0:1], 0, 0, vcc
	s_mov_b64 s[24:25], 0
	v_pk_mov_b32 v[2:3], 0, 0
	v_mov_b32_e32 v18, s23
	v_mov_b32_e32 v19, s26
	v_mov_b32_e32 v20, s9
	v_mov_b32_e32 v21, s26
	s_movk_i32 s9, 0x4f
	s_branch .LBB53_7
.LBB53_5:                               ;   in Loop: Header=BB53_7 Depth=1
	s_or_b64 exec, exec, s[28:29]
.LBB53_6:                               ;   in Loop: Header=BB53_7 Depth=1
	s_or_b64 exec, exec, s[26:27]
	v_add_co_u32_e32 v4, vcc, 32, v4
	v_addc_co_u32_e32 v5, vcc, 0, v5, vcc
	v_cmp_le_i64_e32 vcc, s[18:19], v[4:5]
	s_or_b64 s[24:25], vcc, s[24:25]
	s_andn2_b64 exec, exec, s[24:25]
	s_cbranch_execz .LBB53_18
.LBB53_7:                               ; =>This Loop Header: Depth=1
                                        ;     Child Loop BB53_10 Depth 2
                                        ;       Child Loop BB53_13 Depth 3
	v_lshlrev_b64 v[6:7], 3, v[4:5]
	v_add_co_u32_e32 v6, vcc, s22, v6
	v_addc_co_u32_e32 v7, vcc, v18, v7, vcc
	global_load_dwordx2 v[6:7], v[6:7], off
	s_waitcnt vmcnt(0)
	v_subrev_co_u32_e32 v6, vcc, s3, v6
	v_subb_co_u32_e32 v7, vcc, v7, v19, vcc
	v_lshlrev_b64 v[6:7], 3, v[6:7]
	v_add_co_u32_e32 v6, vcc, s8, v6
	v_addc_co_u32_e32 v7, vcc, v20, v7, vcc
	global_load_dwordx4 v[8:11], v[6:7], off
	s_waitcnt vmcnt(0)
	v_subrev_co_u32_e32 v6, vcc, s33, v10
	v_subb_co_u32_e32 v7, vcc, v11, v21, vcc
	v_add_co_u32_e32 v8, vcc, v16, v8
	v_addc_co_u32_e32 v9, vcc, v17, v9, vcc
	v_cmp_lt_i64_e32 vcc, v[8:9], v[6:7]
	s_and_saveexec_b64 s[26:27], vcc
	s_cbranch_execz .LBB53_6
; %bb.8:                                ;   in Loop: Header=BB53_7 Depth=1
	s_mov_b64 s[28:29], 0
	s_branch .LBB53_10
.LBB53_9:                               ;   in Loop: Header=BB53_10 Depth=2
	s_or_b64 exec, exec, s[38:39]
	v_add_co_u32_e32 v8, vcc, 32, v8
	v_addc_co_u32_e32 v9, vcc, 0, v9, vcc
	v_cndmask_b32_e64 v10, 0, 1, s[30:31]
	v_cmp_ge_i64_e32 vcc, v[8:9], v[6:7]
	s_or_b64 s[28:29], vcc, s[28:29]
	v_add_co_u32_e32 v2, vcc, v2, v10
	v_addc_co_u32_e32 v3, vcc, 0, v3, vcc
	s_andn2_b64 exec, exec, s[28:29]
	s_cbranch_execz .LBB53_5
.LBB53_10:                              ;   Parent Loop BB53_7 Depth=1
                                        ; =>  This Loop Header: Depth=2
                                        ;       Child Loop BB53_13 Depth 3
	v_lshlrev_b64 v[10:11], 3, v[8:9]
	v_mov_b32_e32 v12, s11
	v_add_co_u32_e32 v10, vcc, s10, v10
	v_addc_co_u32_e32 v11, vcc, v12, v11, vcc
	global_load_dwordx2 v[10:11], v[10:11], off
	s_mov_b64 s[38:39], 0
                                        ; implicit-def: $sgpr30_sgpr31
                                        ; implicit-def: $sgpr34_sgpr35
                                        ; implicit-def: $sgpr36_sgpr37
                                        ; implicit-def: $sgpr40_sgpr41
	s_waitcnt vmcnt(0)
	v_subrev_co_u32_e32 v10, vcc, s33, v10
	v_mul_lo_u32 v12, v10, s9
	v_subb_co_u32_e32 v11, vcc, v11, v21, vcc
	v_and_b32_e32 v12, 0x7fff, v12
	s_branch .LBB53_13
.LBB53_11:                              ;   in Loop: Header=BB53_13 Depth=3
	s_or_b64 exec, exec, s[46:47]
	s_andn2_b64 s[36:37], s[36:37], exec
	s_and_b64 s[40:41], s[44:45], exec
	s_andn2_b64 s[34:35], s[34:35], exec
	s_and_b64 s[0:1], s[0:1], exec
	s_or_b64 s[36:37], s[36:37], s[40:41]
	s_or_b64 s[34:35], s[34:35], s[0:1]
                                        ; implicit-def: $sgpr40_sgpr41
.LBB53_12:                              ;   in Loop: Header=BB53_13 Depth=3
	s_or_b64 exec, exec, s[42:43]
	s_xor_b64 s[0:1], s[34:35], -1
	s_and_b64 s[0:1], exec, s[0:1]
	s_or_b64 s[38:39], s[0:1], s[38:39]
	s_andn2_b64 s[0:1], s[40:41], exec
	s_and_b64 s[42:43], s[36:37], exec
	s_or_b64 s[40:41], s[0:1], s[42:43]
	s_andn2_b64 s[0:1], s[30:31], exec
	s_or_b64 s[30:31], s[0:1], s[42:43]
	s_andn2_b64 exec, exec, s[38:39]
	s_cbranch_execz .LBB53_9
.LBB53_13:                              ;   Parent Loop BB53_7 Depth=1
                                        ;     Parent Loop BB53_10 Depth=2
                                        ; =>    This Inner Loop Header: Depth=3
	v_lshl_add_u32 v22, v12, 3, 0
	ds_read_b64 v[14:15], v22
	s_andn2_b64 s[36:37], s[36:37], exec
	s_andn2_b64 s[34:35], s[34:35], exec
	s_waitcnt lgkmcnt(0)
	v_cmp_ne_u64_e32 vcc, v[14:15], v[10:11]
	s_and_saveexec_b64 s[42:43], vcc
	s_cbranch_execz .LBB53_12
; %bb.14:                               ;   in Loop: Header=BB53_13 Depth=3
	v_cmp_ne_u64_e32 vcc, -1, v[14:15]
                                        ; implicit-def: $sgpr44_sgpr45
                                        ; implicit-def: $sgpr0_sgpr1
	s_and_saveexec_b64 s[46:47], vcc
	s_xor_b64 s[46:47], exec, s[46:47]
; %bb.15:                               ;   in Loop: Header=BB53_13 Depth=3
	v_add_u32_e32 v12, 1, v12
	v_and_b32_e32 v12, 0x7fff, v12
	s_mov_b64 s[0:1], -1
	s_and_b64 s[44:45], s[40:41], exec
                                        ; implicit-def: $vgpr22
; %bb.16:                               ;   in Loop: Header=BB53_13 Depth=3
	s_andn2_saveexec_b64 s[46:47], s[46:47]
	s_cbranch_execz .LBB53_11
; %bb.17:                               ;   in Loop: Header=BB53_13 Depth=3
	v_pk_mov_b32 v[14:15], -1, -1
	ds_cmpst_rtn_b64 v[14:15], v22, v[14:15], v[10:11]
	s_andn2_b64 s[48:49], s[0:1], exec
	s_andn2_b64 s[44:45], s[44:45], exec
	s_waitcnt lgkmcnt(0)
	v_cmp_eq_u64_e64 s[0:1], -1, v[14:15]
	v_cmp_ne_u64_e32 vcc, -1, v[14:15]
	s_or_b64 s[40:41], s[0:1], s[40:41]
	s_and_b64 s[0:1], vcc, exec
	s_and_b64 s[40:41], s[40:41], exec
	s_or_b64 s[0:1], s[48:49], s[0:1]
	s_or_b64 s[44:45], s[44:45], s[40:41]
	s_branch .LBB53_11
.LBB53_18:
	s_or_b64 exec, exec, s[24:25]
.LBB53_19:
	s_or_b64 exec, exec, s[20:21]
.LBB53_20:
	s_load_dword s0, s[4:5], 0x54
	s_waitcnt lgkmcnt(0)
	s_bfe_u32 s0, s0, 0x10008
	s_cmp_eq_u32 s0, 0
	s_mov_b32 s0, 0
	s_cbranch_scc1 .LBB53_34
; %bb.21:
	s_lshl_b64 s[4:5], s[6:7], 3
	s_add_u32 s4, s12, s4
	s_addc_u32 s5, s13, s5
	s_load_dwordx4 s[8:11], s[4:5], 0x0
	v_subrev_co_u32_e32 v4, vcc, s2, v1
	v_subb_co_u32_e64 v5, s[4:5], 0, 0, vcc
	s_waitcnt lgkmcnt(0)
	s_sub_u32 s4, s10, s2
	v_mov_b32_e32 v6, s9
	v_add_co_u32_e32 v4, vcc, s8, v4
	s_subb_u32 s5, s11, 0
	v_addc_co_u32_e32 v5, vcc, v5, v6, vcc
	v_cmp_gt_i64_e32 vcc, s[4:5], v[4:5]
	s_and_saveexec_b64 s[8:9], vcc
	s_cbranch_execz .LBB53_33
; %bb.22:
	s_mov_b64 s[10:11], 0
	v_mov_b32_e32 v9, s15
	v_mov_b32_e32 v12, s0
	s_movk_i32 s3, 0x4f
	s_branch .LBB53_24
.LBB53_23:                              ;   in Loop: Header=BB53_24 Depth=1
	s_or_b64 exec, exec, s[22:23]
	v_add_co_u32_e32 v4, vcc, 32, v4
	v_addc_co_u32_e32 v5, vcc, 0, v5, vcc
	v_cndmask_b32_e64 v6, 0, 1, s[12:13]
	v_cmp_le_i64_e32 vcc, s[4:5], v[4:5]
	s_or_b64 s[10:11], vcc, s[10:11]
	v_add_co_u32_e32 v2, vcc, v2, v6
	v_addc_co_u32_e32 v3, vcc, 0, v3, vcc
	s_andn2_b64 exec, exec, s[10:11]
	s_cbranch_execz .LBB53_32
.LBB53_24:                              ; =>This Loop Header: Depth=1
                                        ;     Child Loop BB53_27 Depth 2
	v_lshlrev_b64 v[6:7], 3, v[4:5]
	v_add_co_u32_e32 v6, vcc, s14, v6
	v_addc_co_u32_e32 v7, vcc, v9, v7, vcc
	global_load_dwordx2 v[6:7], v[6:7], off
	s_mov_b64 s[22:23], 0
                                        ; implicit-def: $sgpr12_sgpr13
                                        ; implicit-def: $sgpr18_sgpr19
                                        ; implicit-def: $sgpr20_sgpr21
                                        ; implicit-def: $sgpr24_sgpr25
	s_waitcnt vmcnt(0)
	v_subrev_co_u32_e32 v6, vcc, s2, v6
	v_mul_lo_u32 v8, v6, s3
	v_subb_co_u32_e32 v7, vcc, v7, v12, vcc
	v_and_b32_e32 v8, 0x7fff, v8
	s_branch .LBB53_27
.LBB53_25:                              ;   in Loop: Header=BB53_27 Depth=2
	s_or_b64 exec, exec, s[30:31]
	s_andn2_b64 s[20:21], s[20:21], exec
	s_and_b64 s[24:25], s[28:29], exec
	s_andn2_b64 s[18:19], s[18:19], exec
	s_and_b64 s[0:1], s[0:1], exec
	s_or_b64 s[20:21], s[20:21], s[24:25]
	s_or_b64 s[18:19], s[18:19], s[0:1]
                                        ; implicit-def: $sgpr24_sgpr25
.LBB53_26:                              ;   in Loop: Header=BB53_27 Depth=2
	s_or_b64 exec, exec, s[26:27]
	s_xor_b64 s[0:1], s[18:19], -1
	s_and_b64 s[0:1], exec, s[0:1]
	s_or_b64 s[22:23], s[0:1], s[22:23]
	s_andn2_b64 s[0:1], s[24:25], exec
	s_and_b64 s[26:27], s[20:21], exec
	s_or_b64 s[24:25], s[0:1], s[26:27]
	s_andn2_b64 s[0:1], s[12:13], exec
	s_or_b64 s[12:13], s[0:1], s[26:27]
	s_andn2_b64 exec, exec, s[22:23]
	s_cbranch_execz .LBB53_23
.LBB53_27:                              ;   Parent Loop BB53_24 Depth=1
                                        ; =>  This Inner Loop Header: Depth=2
	v_lshl_add_u32 v14, v8, 3, 0
	ds_read_b64 v[10:11], v14
	s_andn2_b64 s[20:21], s[20:21], exec
	s_andn2_b64 s[18:19], s[18:19], exec
	s_waitcnt lgkmcnt(0)
	v_cmp_ne_u64_e32 vcc, v[10:11], v[6:7]
	s_and_saveexec_b64 s[26:27], vcc
	s_cbranch_execz .LBB53_26
; %bb.28:                               ;   in Loop: Header=BB53_27 Depth=2
	v_cmp_ne_u64_e32 vcc, -1, v[10:11]
                                        ; implicit-def: $sgpr28_sgpr29
                                        ; implicit-def: $sgpr0_sgpr1
	s_and_saveexec_b64 s[30:31], vcc
	s_xor_b64 s[30:31], exec, s[30:31]
; %bb.29:                               ;   in Loop: Header=BB53_27 Depth=2
	v_add_u32_e32 v8, 1, v8
	v_and_b32_e32 v8, 0x7fff, v8
	s_mov_b64 s[0:1], -1
	s_and_b64 s[28:29], s[24:25], exec
                                        ; implicit-def: $vgpr14
; %bb.30:                               ;   in Loop: Header=BB53_27 Depth=2
	s_andn2_saveexec_b64 s[30:31], s[30:31]
	s_cbranch_execz .LBB53_25
; %bb.31:                               ;   in Loop: Header=BB53_27 Depth=2
	v_pk_mov_b32 v[10:11], -1, -1
	ds_cmpst_rtn_b64 v[10:11], v14, v[10:11], v[6:7]
	s_andn2_b64 s[34:35], s[0:1], exec
	s_andn2_b64 s[28:29], s[28:29], exec
	s_waitcnt lgkmcnt(0)
	v_cmp_eq_u64_e64 s[0:1], -1, v[10:11]
	v_cmp_ne_u64_e32 vcc, -1, v[10:11]
	s_or_b64 s[24:25], s[0:1], s[24:25]
	s_and_b64 s[0:1], vcc, exec
	s_and_b64 s[24:25], s[24:25], exec
	s_or_b64 s[0:1], s[34:35], s[0:1]
	s_or_b64 s[28:29], s[28:29], s[24:25]
	s_branch .LBB53_25
.LBB53_32:
	s_or_b64 exec, exec, s[10:11]
.LBB53_33:
	s_or_b64 exec, exec, s[8:9]
.LBB53_34:
	v_mov_b32_dpp v4, v2 row_shr:1 row_mask:0xf bank_mask:0xf
	v_add_co_u32_e32 v2, vcc, v2, v4
	v_mov_b32_dpp v5, v3 row_shr:1 row_mask:0xf bank_mask:0xf
	v_addc_co_u32_e32 v3, vcc, 0, v3, vcc
	v_add_co_u32_e32 v4, vcc, 0, v2
	v_addc_co_u32_e32 v3, vcc, v5, v3, vcc
	v_mov_b32_dpp v2, v2 row_shr:2 row_mask:0xf bank_mask:0xf
	v_add_co_u32_e32 v2, vcc, v4, v2
	v_mov_b32_dpp v5, v3 row_shr:2 row_mask:0xf bank_mask:0xf
	v_addc_co_u32_e32 v3, vcc, 0, v3, vcc
	v_add_co_u32_e32 v4, vcc, 0, v2
	v_addc_co_u32_e32 v3, vcc, v3, v5, vcc
	v_mov_b32_dpp v2, v2 row_shr:4 row_mask:0xf bank_mask:0xe
	s_nop 0
	v_mov_b32_dpp v5, v3 row_shr:4 row_mask:0xf bank_mask:0xe
	v_add_co_u32_e32 v2, vcc, v2, v4
	v_addc_co_u32_e32 v3, vcc, v5, v3, vcc
	s_nop 0
	v_mov_b32_dpp v4, v2 row_shr:8 row_mask:0xf bank_mask:0xc
	v_mov_b32_dpp v5, v3 row_shr:8 row_mask:0xf bank_mask:0xc
	v_add_co_u32_e32 v2, vcc, v4, v2
	v_addc_co_u32_e32 v3, vcc, v5, v3, vcc
	s_nop 0
	v_mov_b32_dpp v4, v2 row_bcast:15 row_mask:0xa bank_mask:0xf
	v_mov_b32_dpp v5, v3 row_bcast:15 row_mask:0xa bank_mask:0xf
	v_cmp_eq_u32_e32 vcc, 31, v13
	s_barrier
	s_and_saveexec_b64 s[0:1], vcc
	s_cbranch_execz .LBB53_36
; %bb.35:
	v_add_co_u32_e32 v2, vcc, v4, v2
	v_lshl_add_u32 v1, v1, 3, 0
	v_addc_co_u32_e32 v3, vcc, v5, v3, vcc
	ds_write_b64 v1, v[2:3]
.LBB53_36:
	s_or_b64 exec, exec, s[0:1]
	v_cmp_gt_u32_e32 vcc, 32, v0
	v_pk_mov_b32 v[2:3], 0, 0
	s_waitcnt lgkmcnt(0)
	s_barrier
	s_and_saveexec_b64 s[0:1], vcc
	s_cbranch_execz .LBB53_38
; %bb.37:
	v_lshl_add_u32 v1, v0, 3, 0
	ds_read_b64 v[2:3], v1
.LBB53_38:
	s_or_b64 exec, exec, s[0:1]
	s_waitcnt lgkmcnt(0)
	v_mov_b32_dpp v1, v2 row_shr:1 row_mask:0xf bank_mask:0xf
	v_add_co_u32_e32 v1, vcc, v2, v1
	v_addc_co_u32_e32 v2, vcc, 0, v3, vcc
	v_mov_b32_dpp v4, v3 row_shr:1 row_mask:0xf bank_mask:0xf
	v_add_co_u32_e32 v3, vcc, 0, v1
	v_addc_co_u32_e32 v2, vcc, v4, v2, vcc
	v_mov_b32_dpp v1, v1 row_shr:2 row_mask:0xf bank_mask:0xf
	v_add_co_u32_e32 v1, vcc, v3, v1
	v_mov_b32_dpp v4, v2 row_shr:2 row_mask:0xf bank_mask:0xf
	v_addc_co_u32_e32 v2, vcc, 0, v2, vcc
	v_add_co_u32_e32 v3, vcc, 0, v1
	v_addc_co_u32_e32 v2, vcc, v2, v4, vcc
	v_mov_b32_dpp v1, v1 row_shr:4 row_mask:0xf bank_mask:0xe
	s_nop 0
	v_mov_b32_dpp v4, v2 row_shr:4 row_mask:0xf bank_mask:0xe
	v_add_co_u32_e32 v1, vcc, v1, v3
	v_addc_co_u32_e32 v2, vcc, v4, v2, vcc
	s_nop 0
	v_mov_b32_dpp v3, v1 row_shr:8 row_mask:0xf bank_mask:0xc
	v_mov_b32_dpp v4, v2 row_shr:8 row_mask:0xf bank_mask:0xc
	v_add_co_u32_e32 v1, vcc, v3, v1
	v_addc_co_u32_e32 v2, vcc, v4, v2, vcc
	s_nop 0
	v_mov_b32_dpp v3, v1 row_bcast:15 row_mask:0xa bank_mask:0xf
	v_mov_b32_dpp v4, v2 row_bcast:15 row_mask:0xa bank_mask:0xf
	v_cmp_eq_u32_e32 vcc, 31, v0
	s_and_saveexec_b64 s[0:1], vcc
	s_cbranch_execz .LBB53_40
; %bb.39:
	s_lshl_b64 s[0:1], s[6:7], 3
	s_add_u32 s0, s16, s0
	v_add_co_u32_e32 v0, vcc, v3, v1
	s_addc_u32 s1, s17, s1
	v_mov_b32_e32 v5, 0
	v_addc_co_u32_e32 v1, vcc, v4, v2, vcc
	global_store_dwordx2 v5, v[0:1], s[0:1]
.LBB53_40:
	s_endpgm
	.section	.rodata,"a",@progbits
	.p2align	6, 0x0
	.amdhsa_kernel _ZN9rocsparseL25csrgemm_nnz_block_per_rowILj1024ELj32ELj32768ELj79EllEEvPKT4_S3_PKT3_S3_S6_S3_S6_S3_PS4_21rocsparse_index_base_S8_S8_bb
		.amdhsa_group_segment_fixed_size 0
		.amdhsa_private_segment_fixed_size 0
		.amdhsa_kernarg_size 88
		.amdhsa_user_sgpr_count 6
		.amdhsa_user_sgpr_private_segment_buffer 1
		.amdhsa_user_sgpr_dispatch_ptr 0
		.amdhsa_user_sgpr_queue_ptr 0
		.amdhsa_user_sgpr_kernarg_segment_ptr 1
		.amdhsa_user_sgpr_dispatch_id 0
		.amdhsa_user_sgpr_flat_scratch_init 0
		.amdhsa_user_sgpr_kernarg_preload_length 0
		.amdhsa_user_sgpr_kernarg_preload_offset 0
		.amdhsa_user_sgpr_private_segment_size 0
		.amdhsa_uses_dynamic_stack 0
		.amdhsa_system_sgpr_private_segment_wavefront_offset 0
		.amdhsa_system_sgpr_workgroup_id_x 1
		.amdhsa_system_sgpr_workgroup_id_y 0
		.amdhsa_system_sgpr_workgroup_id_z 0
		.amdhsa_system_sgpr_workgroup_info 0
		.amdhsa_system_vgpr_workitem_id 0
		.amdhsa_next_free_vgpr 23
		.amdhsa_next_free_sgpr 50
		.amdhsa_accum_offset 24
		.amdhsa_reserve_vcc 1
		.amdhsa_reserve_flat_scratch 0
		.amdhsa_float_round_mode_32 0
		.amdhsa_float_round_mode_16_64 0
		.amdhsa_float_denorm_mode_32 3
		.amdhsa_float_denorm_mode_16_64 3
		.amdhsa_dx10_clamp 1
		.amdhsa_ieee_mode 1
		.amdhsa_fp16_overflow 0
		.amdhsa_tg_split 0
		.amdhsa_exception_fp_ieee_invalid_op 0
		.amdhsa_exception_fp_denorm_src 0
		.amdhsa_exception_fp_ieee_div_zero 0
		.amdhsa_exception_fp_ieee_overflow 0
		.amdhsa_exception_fp_ieee_underflow 0
		.amdhsa_exception_fp_ieee_inexact 0
		.amdhsa_exception_int_div_zero 0
	.end_amdhsa_kernel
	.section	.text._ZN9rocsparseL25csrgemm_nnz_block_per_rowILj1024ELj32ELj32768ELj79EllEEvPKT4_S3_PKT3_S3_S6_S3_S6_S3_PS4_21rocsparse_index_base_S8_S8_bb,"axG",@progbits,_ZN9rocsparseL25csrgemm_nnz_block_per_rowILj1024ELj32ELj32768ELj79EllEEvPKT4_S3_PKT3_S3_S6_S3_S6_S3_PS4_21rocsparse_index_base_S8_S8_bb,comdat
.Lfunc_end53:
	.size	_ZN9rocsparseL25csrgemm_nnz_block_per_rowILj1024ELj32ELj32768ELj79EllEEvPKT4_S3_PKT3_S3_S6_S3_S6_S3_PS4_21rocsparse_index_base_S8_S8_bb, .Lfunc_end53-_ZN9rocsparseL25csrgemm_nnz_block_per_rowILj1024ELj32ELj32768ELj79EllEEvPKT4_S3_PKT3_S3_S6_S3_S6_S3_PS4_21rocsparse_index_base_S8_S8_bb
                                        ; -- End function
	.section	.AMDGPU.csdata,"",@progbits
; Kernel info:
; codeLenInByte = 1676
; NumSgprs: 54
; NumVgprs: 23
; NumAgprs: 0
; TotalNumVgprs: 23
; ScratchSize: 0
; MemoryBound: 0
; FloatMode: 240
; IeeeMode: 1
; LDSByteSize: 0 bytes/workgroup (compile time only)
; SGPRBlocks: 6
; VGPRBlocks: 2
; NumSGPRsForWavesPerEU: 54
; NumVGPRsForWavesPerEU: 23
; AccumOffset: 24
; Occupancy: 8
; WaveLimiterHint : 1
; COMPUTE_PGM_RSRC2:SCRATCH_EN: 0
; COMPUTE_PGM_RSRC2:USER_SGPR: 6
; COMPUTE_PGM_RSRC2:TRAP_HANDLER: 0
; COMPUTE_PGM_RSRC2:TGID_X_EN: 1
; COMPUTE_PGM_RSRC2:TGID_Y_EN: 0
; COMPUTE_PGM_RSRC2:TGID_Z_EN: 0
; COMPUTE_PGM_RSRC2:TIDIG_COMP_CNT: 0
; COMPUTE_PGM_RSRC3_GFX90A:ACCUM_OFFSET: 5
; COMPUTE_PGM_RSRC3_GFX90A:TG_SPLIT: 0
	.section	.text._ZN9rocsparseL25csrgemm_nnz_block_per_rowILj1024ELj32ELj65536ELj79EllEEvPKT4_S3_PKT3_S3_S6_S3_S6_S3_PS4_21rocsparse_index_base_S8_S8_bb,"axG",@progbits,_ZN9rocsparseL25csrgemm_nnz_block_per_rowILj1024ELj32ELj65536ELj79EllEEvPKT4_S3_PKT3_S3_S6_S3_S6_S3_PS4_21rocsparse_index_base_S8_S8_bb,comdat
	.globl	_ZN9rocsparseL25csrgemm_nnz_block_per_rowILj1024ELj32ELj65536ELj79EllEEvPKT4_S3_PKT3_S3_S6_S3_S6_S3_PS4_21rocsparse_index_base_S8_S8_bb ; -- Begin function _ZN9rocsparseL25csrgemm_nnz_block_per_rowILj1024ELj32ELj65536ELj79EllEEvPKT4_S3_PKT3_S3_S6_S3_S6_S3_PS4_21rocsparse_index_base_S8_S8_bb
	.p2align	8
	.type	_ZN9rocsparseL25csrgemm_nnz_block_per_rowILj1024ELj32ELj65536ELj79EllEEvPKT4_S3_PKT3_S3_S6_S3_S6_S3_PS4_21rocsparse_index_base_S8_S8_bb,@function
_ZN9rocsparseL25csrgemm_nnz_block_per_rowILj1024ELj32ELj65536ELj79EllEEvPKT4_S3_PKT3_S3_S6_S3_S6_S3_PS4_21rocsparse_index_base_S8_S8_bb: ; @_ZN9rocsparseL25csrgemm_nnz_block_per_rowILj1024ELj32ELj65536ELj79EllEEvPKT4_S3_PKT3_S3_S6_S3_S6_S3_PS4_21rocsparse_index_base_S8_S8_bb
; %bb.0:
	s_load_dwordx8 s[16:23], s[4:5], 0x0
	s_mov_b32 s7, 0
	v_mov_b32_e32 v2, -1
	v_or_b32_e32 v1, 0xfffffc00, v0
	v_lshl_add_u32 v4, v0, 3, 0
	s_waitcnt lgkmcnt(0)
	s_load_dwordx2 s[0:1], s[16:17], 0x0
	s_nop 0
	s_load_dwordx2 s[16:17], s[4:5], 0x40
	s_load_dwordx8 s[8:15], s[4:5], 0x20
	v_mov_b32_e32 v3, v2
	s_waitcnt lgkmcnt(0)
	s_lshl_b64 s[0:1], s[0:1], 3
	s_add_u32 s2, s18, s0
	s_addc_u32 s3, s19, s1
	s_lshl_b64 s[0:1], s[6:7], 3
	s_add_u32 s0, s2, s0
	s_addc_u32 s1, s3, s1
	s_load_dwordx2 s[6:7], s[0:1], 0x0
	s_mov_b64 s[0:1], 0
	s_mov_b32 s2, 0xfbff
.LBB54_1:                               ; =>This Inner Loop Header: Depth=1
	v_add_u32_e32 v1, 0x400, v1
	v_cmp_lt_u32_e32 vcc, s2, v1
	ds_write_b64 v4, v[2:3]
	s_or_b64 s[0:1], vcc, s[0:1]
	v_add_u32_e32 v4, 0x2000, v4
	s_andn2_b64 exec, exec, s[0:1]
	s_cbranch_execnz .LBB54_1
; %bb.2:
	s_or_b64 exec, exec, s[0:1]
	s_load_dwordx4 s[0:3], s[4:5], 0x48
	v_and_b32_e32 v13, 31, v0
	v_lshrrev_b32_e32 v1, 5, v0
	v_pk_mov_b32 v[2:3], 0, 0
	s_waitcnt lgkmcnt(0)
	s_bitcmp1_b32 s3, 0
	s_cselect_b64 s[18:19], -1, 0
	s_and_b64 vcc, exec, s[18:19]
	s_barrier
	s_cbranch_vccz .LBB54_20
; %bb.3:
	s_lshl_b64 s[18:19], s[6:7], 3
	s_add_u32 s18, s20, s18
	s_addc_u32 s19, s21, s19
	s_load_dwordx4 s[28:31], s[18:19], 0x0
	v_subrev_co_u32_e32 v2, vcc, s0, v1
	v_subb_co_u32_e64 v3, s[20:21], 0, 0, vcc
	s_waitcnt lgkmcnt(0)
	s_sub_u32 s18, s30, s0
	v_mov_b32_e32 v5, s29
	v_add_co_u32_e32 v4, vcc, s28, v2
	s_subb_u32 s19, s31, 0
	v_addc_co_u32_e32 v5, vcc, v3, v5, vcc
	s_mov_b32 s26, 0
	v_cmp_gt_i64_e32 vcc, s[18:19], v[4:5]
	v_pk_mov_b32 v[2:3], 0, 0
	s_and_saveexec_b64 s[20:21], vcc
	s_cbranch_execz .LBB54_19
; %bb.4:
	v_subrev_co_u32_e32 v16, vcc, s1, v13
	s_mov_b32 s3, s0
	s_mov_b32 s33, s1
	v_subb_co_u32_e64 v17, s[0:1], 0, 0, vcc
	s_mov_b64 s[24:25], 0
	v_pk_mov_b32 v[2:3], 0, 0
	v_mov_b32_e32 v18, s23
	v_mov_b32_e32 v19, s26
	;; [unrolled: 1-line block ×4, first 2 shown]
	s_movk_i32 s9, 0x4f
	s_branch .LBB54_7
.LBB54_5:                               ;   in Loop: Header=BB54_7 Depth=1
	s_or_b64 exec, exec, s[28:29]
.LBB54_6:                               ;   in Loop: Header=BB54_7 Depth=1
	s_or_b64 exec, exec, s[26:27]
	v_add_co_u32_e32 v4, vcc, 32, v4
	v_addc_co_u32_e32 v5, vcc, 0, v5, vcc
	v_cmp_le_i64_e32 vcc, s[18:19], v[4:5]
	s_or_b64 s[24:25], vcc, s[24:25]
	s_andn2_b64 exec, exec, s[24:25]
	s_cbranch_execz .LBB54_18
.LBB54_7:                               ; =>This Loop Header: Depth=1
                                        ;     Child Loop BB54_10 Depth 2
                                        ;       Child Loop BB54_13 Depth 3
	v_lshlrev_b64 v[6:7], 3, v[4:5]
	v_add_co_u32_e32 v6, vcc, s22, v6
	v_addc_co_u32_e32 v7, vcc, v18, v7, vcc
	global_load_dwordx2 v[6:7], v[6:7], off
	s_waitcnt vmcnt(0)
	v_subrev_co_u32_e32 v6, vcc, s3, v6
	v_subb_co_u32_e32 v7, vcc, v7, v19, vcc
	v_lshlrev_b64 v[6:7], 3, v[6:7]
	v_add_co_u32_e32 v6, vcc, s8, v6
	v_addc_co_u32_e32 v7, vcc, v20, v7, vcc
	global_load_dwordx4 v[8:11], v[6:7], off
	s_waitcnt vmcnt(0)
	v_subrev_co_u32_e32 v6, vcc, s33, v10
	v_subb_co_u32_e32 v7, vcc, v11, v21, vcc
	v_add_co_u32_e32 v8, vcc, v16, v8
	v_addc_co_u32_e32 v9, vcc, v17, v9, vcc
	v_cmp_lt_i64_e32 vcc, v[8:9], v[6:7]
	s_and_saveexec_b64 s[26:27], vcc
	s_cbranch_execz .LBB54_6
; %bb.8:                                ;   in Loop: Header=BB54_7 Depth=1
	s_mov_b64 s[28:29], 0
	s_branch .LBB54_10
.LBB54_9:                               ;   in Loop: Header=BB54_10 Depth=2
	s_or_b64 exec, exec, s[38:39]
	v_add_co_u32_e32 v8, vcc, 32, v8
	v_addc_co_u32_e32 v9, vcc, 0, v9, vcc
	v_cndmask_b32_e64 v10, 0, 1, s[30:31]
	v_cmp_ge_i64_e32 vcc, v[8:9], v[6:7]
	s_or_b64 s[28:29], vcc, s[28:29]
	v_add_co_u32_e32 v2, vcc, v2, v10
	v_addc_co_u32_e32 v3, vcc, 0, v3, vcc
	s_andn2_b64 exec, exec, s[28:29]
	s_cbranch_execz .LBB54_5
.LBB54_10:                              ;   Parent Loop BB54_7 Depth=1
                                        ; =>  This Loop Header: Depth=2
                                        ;       Child Loop BB54_13 Depth 3
	v_lshlrev_b64 v[10:11], 3, v[8:9]
	v_mov_b32_e32 v12, s11
	v_add_co_u32_e32 v10, vcc, s10, v10
	v_addc_co_u32_e32 v11, vcc, v12, v11, vcc
	global_load_dwordx2 v[10:11], v[10:11], off
	s_mov_b64 s[38:39], 0
                                        ; implicit-def: $sgpr30_sgpr31
                                        ; implicit-def: $sgpr34_sgpr35
                                        ; implicit-def: $sgpr36_sgpr37
                                        ; implicit-def: $sgpr40_sgpr41
	s_waitcnt vmcnt(0)
	v_subrev_co_u32_e32 v10, vcc, s33, v10
	v_mul_lo_u32 v12, v10, s9
	v_subb_co_u32_e32 v11, vcc, v11, v21, vcc
	v_and_b32_e32 v12, 0xffff, v12
	s_branch .LBB54_13
.LBB54_11:                              ;   in Loop: Header=BB54_13 Depth=3
	s_or_b64 exec, exec, s[46:47]
	s_andn2_b64 s[36:37], s[36:37], exec
	s_and_b64 s[40:41], s[44:45], exec
	s_andn2_b64 s[34:35], s[34:35], exec
	s_and_b64 s[0:1], s[0:1], exec
	s_or_b64 s[36:37], s[36:37], s[40:41]
	s_or_b64 s[34:35], s[34:35], s[0:1]
                                        ; implicit-def: $sgpr40_sgpr41
.LBB54_12:                              ;   in Loop: Header=BB54_13 Depth=3
	s_or_b64 exec, exec, s[42:43]
	s_xor_b64 s[0:1], s[34:35], -1
	s_and_b64 s[0:1], exec, s[0:1]
	s_or_b64 s[38:39], s[0:1], s[38:39]
	s_andn2_b64 s[0:1], s[40:41], exec
	s_and_b64 s[42:43], s[36:37], exec
	s_or_b64 s[40:41], s[0:1], s[42:43]
	s_andn2_b64 s[0:1], s[30:31], exec
	s_or_b64 s[30:31], s[0:1], s[42:43]
	s_andn2_b64 exec, exec, s[38:39]
	s_cbranch_execz .LBB54_9
.LBB54_13:                              ;   Parent Loop BB54_7 Depth=1
                                        ;     Parent Loop BB54_10 Depth=2
                                        ; =>    This Inner Loop Header: Depth=3
	v_lshl_add_u32 v22, v12, 3, 0
	ds_read_b64 v[14:15], v22
	s_andn2_b64 s[36:37], s[36:37], exec
	s_andn2_b64 s[34:35], s[34:35], exec
	s_waitcnt lgkmcnt(0)
	v_cmp_ne_u64_e32 vcc, v[14:15], v[10:11]
	s_and_saveexec_b64 s[42:43], vcc
	s_cbranch_execz .LBB54_12
; %bb.14:                               ;   in Loop: Header=BB54_13 Depth=3
	v_cmp_ne_u64_e32 vcc, -1, v[14:15]
                                        ; implicit-def: $sgpr44_sgpr45
                                        ; implicit-def: $sgpr0_sgpr1
	s_and_saveexec_b64 s[46:47], vcc
	s_xor_b64 s[46:47], exec, s[46:47]
; %bb.15:                               ;   in Loop: Header=BB54_13 Depth=3
	v_add_u32_e32 v12, 1, v12
	v_and_b32_e32 v12, 0xffff, v12
	s_mov_b64 s[0:1], -1
	s_and_b64 s[44:45], s[40:41], exec
                                        ; implicit-def: $vgpr22
; %bb.16:                               ;   in Loop: Header=BB54_13 Depth=3
	s_andn2_saveexec_b64 s[46:47], s[46:47]
	s_cbranch_execz .LBB54_11
; %bb.17:                               ;   in Loop: Header=BB54_13 Depth=3
	v_pk_mov_b32 v[14:15], -1, -1
	ds_cmpst_rtn_b64 v[14:15], v22, v[14:15], v[10:11]
	s_andn2_b64 s[48:49], s[0:1], exec
	s_andn2_b64 s[44:45], s[44:45], exec
	s_waitcnt lgkmcnt(0)
	v_cmp_eq_u64_e64 s[0:1], -1, v[14:15]
	v_cmp_ne_u64_e32 vcc, -1, v[14:15]
	s_or_b64 s[40:41], s[0:1], s[40:41]
	s_and_b64 s[0:1], vcc, exec
	s_and_b64 s[40:41], s[40:41], exec
	s_or_b64 s[0:1], s[48:49], s[0:1]
	s_or_b64 s[44:45], s[44:45], s[40:41]
	s_branch .LBB54_11
.LBB54_18:
	s_or_b64 exec, exec, s[24:25]
.LBB54_19:
	s_or_b64 exec, exec, s[20:21]
.LBB54_20:
	s_load_dword s0, s[4:5], 0x54
	s_waitcnt lgkmcnt(0)
	s_bfe_u32 s0, s0, 0x10008
	s_cmp_eq_u32 s0, 0
	s_mov_b32 s0, 0
	s_cbranch_scc1 .LBB54_34
; %bb.21:
	s_lshl_b64 s[4:5], s[6:7], 3
	s_add_u32 s4, s12, s4
	s_addc_u32 s5, s13, s5
	s_load_dwordx4 s[8:11], s[4:5], 0x0
	v_subrev_co_u32_e32 v4, vcc, s2, v1
	v_subb_co_u32_e64 v5, s[4:5], 0, 0, vcc
	s_waitcnt lgkmcnt(0)
	s_sub_u32 s4, s10, s2
	v_mov_b32_e32 v6, s9
	v_add_co_u32_e32 v4, vcc, s8, v4
	s_subb_u32 s5, s11, 0
	v_addc_co_u32_e32 v5, vcc, v5, v6, vcc
	v_cmp_gt_i64_e32 vcc, s[4:5], v[4:5]
	s_and_saveexec_b64 s[8:9], vcc
	s_cbranch_execz .LBB54_33
; %bb.22:
	s_mov_b64 s[10:11], 0
	v_mov_b32_e32 v9, s15
	v_mov_b32_e32 v12, s0
	s_movk_i32 s3, 0x4f
	s_branch .LBB54_24
.LBB54_23:                              ;   in Loop: Header=BB54_24 Depth=1
	s_or_b64 exec, exec, s[22:23]
	v_add_co_u32_e32 v4, vcc, 32, v4
	v_addc_co_u32_e32 v5, vcc, 0, v5, vcc
	v_cndmask_b32_e64 v6, 0, 1, s[12:13]
	v_cmp_le_i64_e32 vcc, s[4:5], v[4:5]
	s_or_b64 s[10:11], vcc, s[10:11]
	v_add_co_u32_e32 v2, vcc, v2, v6
	v_addc_co_u32_e32 v3, vcc, 0, v3, vcc
	s_andn2_b64 exec, exec, s[10:11]
	s_cbranch_execz .LBB54_32
.LBB54_24:                              ; =>This Loop Header: Depth=1
                                        ;     Child Loop BB54_27 Depth 2
	v_lshlrev_b64 v[6:7], 3, v[4:5]
	v_add_co_u32_e32 v6, vcc, s14, v6
	v_addc_co_u32_e32 v7, vcc, v9, v7, vcc
	global_load_dwordx2 v[6:7], v[6:7], off
	s_mov_b64 s[22:23], 0
                                        ; implicit-def: $sgpr12_sgpr13
                                        ; implicit-def: $sgpr18_sgpr19
                                        ; implicit-def: $sgpr20_sgpr21
                                        ; implicit-def: $sgpr24_sgpr25
	s_waitcnt vmcnt(0)
	v_subrev_co_u32_e32 v6, vcc, s2, v6
	v_mul_lo_u32 v8, v6, s3
	v_subb_co_u32_e32 v7, vcc, v7, v12, vcc
	v_and_b32_e32 v8, 0xffff, v8
	s_branch .LBB54_27
.LBB54_25:                              ;   in Loop: Header=BB54_27 Depth=2
	s_or_b64 exec, exec, s[30:31]
	s_andn2_b64 s[20:21], s[20:21], exec
	s_and_b64 s[24:25], s[28:29], exec
	s_andn2_b64 s[18:19], s[18:19], exec
	s_and_b64 s[0:1], s[0:1], exec
	s_or_b64 s[20:21], s[20:21], s[24:25]
	s_or_b64 s[18:19], s[18:19], s[0:1]
                                        ; implicit-def: $sgpr24_sgpr25
.LBB54_26:                              ;   in Loop: Header=BB54_27 Depth=2
	s_or_b64 exec, exec, s[26:27]
	s_xor_b64 s[0:1], s[18:19], -1
	s_and_b64 s[0:1], exec, s[0:1]
	s_or_b64 s[22:23], s[0:1], s[22:23]
	s_andn2_b64 s[0:1], s[24:25], exec
	s_and_b64 s[26:27], s[20:21], exec
	s_or_b64 s[24:25], s[0:1], s[26:27]
	s_andn2_b64 s[0:1], s[12:13], exec
	s_or_b64 s[12:13], s[0:1], s[26:27]
	s_andn2_b64 exec, exec, s[22:23]
	s_cbranch_execz .LBB54_23
.LBB54_27:                              ;   Parent Loop BB54_24 Depth=1
                                        ; =>  This Inner Loop Header: Depth=2
	v_lshl_add_u32 v14, v8, 3, 0
	ds_read_b64 v[10:11], v14
	s_andn2_b64 s[20:21], s[20:21], exec
	s_andn2_b64 s[18:19], s[18:19], exec
	s_waitcnt lgkmcnt(0)
	v_cmp_ne_u64_e32 vcc, v[10:11], v[6:7]
	s_and_saveexec_b64 s[26:27], vcc
	s_cbranch_execz .LBB54_26
; %bb.28:                               ;   in Loop: Header=BB54_27 Depth=2
	v_cmp_ne_u64_e32 vcc, -1, v[10:11]
                                        ; implicit-def: $sgpr28_sgpr29
                                        ; implicit-def: $sgpr0_sgpr1
	s_and_saveexec_b64 s[30:31], vcc
	s_xor_b64 s[30:31], exec, s[30:31]
; %bb.29:                               ;   in Loop: Header=BB54_27 Depth=2
	v_add_u32_e32 v8, 1, v8
	v_and_b32_e32 v8, 0xffff, v8
	s_mov_b64 s[0:1], -1
	s_and_b64 s[28:29], s[24:25], exec
                                        ; implicit-def: $vgpr14
; %bb.30:                               ;   in Loop: Header=BB54_27 Depth=2
	s_andn2_saveexec_b64 s[30:31], s[30:31]
	s_cbranch_execz .LBB54_25
; %bb.31:                               ;   in Loop: Header=BB54_27 Depth=2
	v_pk_mov_b32 v[10:11], -1, -1
	ds_cmpst_rtn_b64 v[10:11], v14, v[10:11], v[6:7]
	s_andn2_b64 s[34:35], s[0:1], exec
	s_andn2_b64 s[28:29], s[28:29], exec
	s_waitcnt lgkmcnt(0)
	v_cmp_eq_u64_e64 s[0:1], -1, v[10:11]
	v_cmp_ne_u64_e32 vcc, -1, v[10:11]
	s_or_b64 s[24:25], s[0:1], s[24:25]
	s_and_b64 s[0:1], vcc, exec
	s_and_b64 s[24:25], s[24:25], exec
	s_or_b64 s[0:1], s[34:35], s[0:1]
	s_or_b64 s[28:29], s[28:29], s[24:25]
	s_branch .LBB54_25
.LBB54_32:
	s_or_b64 exec, exec, s[10:11]
.LBB54_33:
	s_or_b64 exec, exec, s[8:9]
.LBB54_34:
	v_mov_b32_dpp v4, v2 row_shr:1 row_mask:0xf bank_mask:0xf
	v_add_co_u32_e32 v2, vcc, v2, v4
	v_mov_b32_dpp v5, v3 row_shr:1 row_mask:0xf bank_mask:0xf
	v_addc_co_u32_e32 v3, vcc, 0, v3, vcc
	v_add_co_u32_e32 v4, vcc, 0, v2
	v_addc_co_u32_e32 v3, vcc, v5, v3, vcc
	v_mov_b32_dpp v2, v2 row_shr:2 row_mask:0xf bank_mask:0xf
	v_add_co_u32_e32 v2, vcc, v4, v2
	v_mov_b32_dpp v5, v3 row_shr:2 row_mask:0xf bank_mask:0xf
	v_addc_co_u32_e32 v3, vcc, 0, v3, vcc
	v_add_co_u32_e32 v4, vcc, 0, v2
	v_addc_co_u32_e32 v3, vcc, v3, v5, vcc
	v_mov_b32_dpp v2, v2 row_shr:4 row_mask:0xf bank_mask:0xe
	s_nop 0
	v_mov_b32_dpp v5, v3 row_shr:4 row_mask:0xf bank_mask:0xe
	v_add_co_u32_e32 v2, vcc, v2, v4
	v_addc_co_u32_e32 v3, vcc, v5, v3, vcc
	s_nop 0
	v_mov_b32_dpp v4, v2 row_shr:8 row_mask:0xf bank_mask:0xc
	v_mov_b32_dpp v5, v3 row_shr:8 row_mask:0xf bank_mask:0xc
	v_add_co_u32_e32 v2, vcc, v4, v2
	v_addc_co_u32_e32 v3, vcc, v5, v3, vcc
	s_nop 0
	v_mov_b32_dpp v4, v2 row_bcast:15 row_mask:0xa bank_mask:0xf
	v_mov_b32_dpp v5, v3 row_bcast:15 row_mask:0xa bank_mask:0xf
	v_cmp_eq_u32_e32 vcc, 31, v13
	s_barrier
	s_and_saveexec_b64 s[0:1], vcc
	s_cbranch_execz .LBB54_36
; %bb.35:
	v_add_co_u32_e32 v2, vcc, v4, v2
	v_lshl_add_u32 v1, v1, 3, 0
	v_addc_co_u32_e32 v3, vcc, v5, v3, vcc
	ds_write_b64 v1, v[2:3]
.LBB54_36:
	s_or_b64 exec, exec, s[0:1]
	v_cmp_gt_u32_e32 vcc, 32, v0
	v_pk_mov_b32 v[2:3], 0, 0
	s_waitcnt lgkmcnt(0)
	s_barrier
	s_and_saveexec_b64 s[0:1], vcc
	s_cbranch_execz .LBB54_38
; %bb.37:
	v_lshl_add_u32 v1, v0, 3, 0
	ds_read_b64 v[2:3], v1
.LBB54_38:
	s_or_b64 exec, exec, s[0:1]
	s_waitcnt lgkmcnt(0)
	v_mov_b32_dpp v1, v2 row_shr:1 row_mask:0xf bank_mask:0xf
	v_add_co_u32_e32 v1, vcc, v2, v1
	v_addc_co_u32_e32 v2, vcc, 0, v3, vcc
	v_mov_b32_dpp v4, v3 row_shr:1 row_mask:0xf bank_mask:0xf
	v_add_co_u32_e32 v3, vcc, 0, v1
	v_addc_co_u32_e32 v2, vcc, v4, v2, vcc
	v_mov_b32_dpp v1, v1 row_shr:2 row_mask:0xf bank_mask:0xf
	v_add_co_u32_e32 v1, vcc, v3, v1
	v_mov_b32_dpp v4, v2 row_shr:2 row_mask:0xf bank_mask:0xf
	v_addc_co_u32_e32 v2, vcc, 0, v2, vcc
	v_add_co_u32_e32 v3, vcc, 0, v1
	v_addc_co_u32_e32 v2, vcc, v2, v4, vcc
	v_mov_b32_dpp v1, v1 row_shr:4 row_mask:0xf bank_mask:0xe
	s_nop 0
	v_mov_b32_dpp v4, v2 row_shr:4 row_mask:0xf bank_mask:0xe
	v_add_co_u32_e32 v1, vcc, v1, v3
	v_addc_co_u32_e32 v2, vcc, v4, v2, vcc
	s_nop 0
	v_mov_b32_dpp v3, v1 row_shr:8 row_mask:0xf bank_mask:0xc
	v_mov_b32_dpp v4, v2 row_shr:8 row_mask:0xf bank_mask:0xc
	v_add_co_u32_e32 v1, vcc, v3, v1
	v_addc_co_u32_e32 v2, vcc, v4, v2, vcc
	s_nop 0
	v_mov_b32_dpp v3, v1 row_bcast:15 row_mask:0xa bank_mask:0xf
	v_mov_b32_dpp v4, v2 row_bcast:15 row_mask:0xa bank_mask:0xf
	v_cmp_eq_u32_e32 vcc, 31, v0
	s_and_saveexec_b64 s[0:1], vcc
	s_cbranch_execz .LBB54_40
; %bb.39:
	s_lshl_b64 s[0:1], s[6:7], 3
	s_add_u32 s0, s16, s0
	v_add_co_u32_e32 v0, vcc, v3, v1
	s_addc_u32 s1, s17, s1
	v_mov_b32_e32 v5, 0
	v_addc_co_u32_e32 v1, vcc, v4, v2, vcc
	global_store_dwordx2 v5, v[0:1], s[0:1]
.LBB54_40:
	s_endpgm
	.section	.rodata,"a",@progbits
	.p2align	6, 0x0
	.amdhsa_kernel _ZN9rocsparseL25csrgemm_nnz_block_per_rowILj1024ELj32ELj65536ELj79EllEEvPKT4_S3_PKT3_S3_S6_S3_S6_S3_PS4_21rocsparse_index_base_S8_S8_bb
		.amdhsa_group_segment_fixed_size 0
		.amdhsa_private_segment_fixed_size 0
		.amdhsa_kernarg_size 88
		.amdhsa_user_sgpr_count 6
		.amdhsa_user_sgpr_private_segment_buffer 1
		.amdhsa_user_sgpr_dispatch_ptr 0
		.amdhsa_user_sgpr_queue_ptr 0
		.amdhsa_user_sgpr_kernarg_segment_ptr 1
		.amdhsa_user_sgpr_dispatch_id 0
		.amdhsa_user_sgpr_flat_scratch_init 0
		.amdhsa_user_sgpr_kernarg_preload_length 0
		.amdhsa_user_sgpr_kernarg_preload_offset 0
		.amdhsa_user_sgpr_private_segment_size 0
		.amdhsa_uses_dynamic_stack 0
		.amdhsa_system_sgpr_private_segment_wavefront_offset 0
		.amdhsa_system_sgpr_workgroup_id_x 1
		.amdhsa_system_sgpr_workgroup_id_y 0
		.amdhsa_system_sgpr_workgroup_id_z 0
		.amdhsa_system_sgpr_workgroup_info 0
		.amdhsa_system_vgpr_workitem_id 0
		.amdhsa_next_free_vgpr 23
		.amdhsa_next_free_sgpr 50
		.amdhsa_accum_offset 24
		.amdhsa_reserve_vcc 1
		.amdhsa_reserve_flat_scratch 0
		.amdhsa_float_round_mode_32 0
		.amdhsa_float_round_mode_16_64 0
		.amdhsa_float_denorm_mode_32 3
		.amdhsa_float_denorm_mode_16_64 3
		.amdhsa_dx10_clamp 1
		.amdhsa_ieee_mode 1
		.amdhsa_fp16_overflow 0
		.amdhsa_tg_split 0
		.amdhsa_exception_fp_ieee_invalid_op 0
		.amdhsa_exception_fp_denorm_src 0
		.amdhsa_exception_fp_ieee_div_zero 0
		.amdhsa_exception_fp_ieee_overflow 0
		.amdhsa_exception_fp_ieee_underflow 0
		.amdhsa_exception_fp_ieee_inexact 0
		.amdhsa_exception_int_div_zero 0
	.end_amdhsa_kernel
	.section	.text._ZN9rocsparseL25csrgemm_nnz_block_per_rowILj1024ELj32ELj65536ELj79EllEEvPKT4_S3_PKT3_S3_S6_S3_S6_S3_PS4_21rocsparse_index_base_S8_S8_bb,"axG",@progbits,_ZN9rocsparseL25csrgemm_nnz_block_per_rowILj1024ELj32ELj65536ELj79EllEEvPKT4_S3_PKT3_S3_S6_S3_S6_S3_PS4_21rocsparse_index_base_S8_S8_bb,comdat
.Lfunc_end54:
	.size	_ZN9rocsparseL25csrgemm_nnz_block_per_rowILj1024ELj32ELj65536ELj79EllEEvPKT4_S3_PKT3_S3_S6_S3_S6_S3_PS4_21rocsparse_index_base_S8_S8_bb, .Lfunc_end54-_ZN9rocsparseL25csrgemm_nnz_block_per_rowILj1024ELj32ELj65536ELj79EllEEvPKT4_S3_PKT3_S3_S6_S3_S6_S3_PS4_21rocsparse_index_base_S8_S8_bb
                                        ; -- End function
	.section	.AMDGPU.csdata,"",@progbits
; Kernel info:
; codeLenInByte = 1680
; NumSgprs: 54
; NumVgprs: 23
; NumAgprs: 0
; TotalNumVgprs: 23
; ScratchSize: 0
; MemoryBound: 0
; FloatMode: 240
; IeeeMode: 1
; LDSByteSize: 0 bytes/workgroup (compile time only)
; SGPRBlocks: 6
; VGPRBlocks: 2
; NumSGPRsForWavesPerEU: 54
; NumVGPRsForWavesPerEU: 23
; AccumOffset: 24
; Occupancy: 8
; WaveLimiterHint : 1
; COMPUTE_PGM_RSRC2:SCRATCH_EN: 0
; COMPUTE_PGM_RSRC2:USER_SGPR: 6
; COMPUTE_PGM_RSRC2:TRAP_HANDLER: 0
; COMPUTE_PGM_RSRC2:TGID_X_EN: 1
; COMPUTE_PGM_RSRC2:TGID_Y_EN: 0
; COMPUTE_PGM_RSRC2:TGID_Z_EN: 0
; COMPUTE_PGM_RSRC2:TIDIG_COMP_CNT: 0
; COMPUTE_PGM_RSRC3_GFX90A:ACCUM_OFFSET: 5
; COMPUTE_PGM_RSRC3_GFX90A:TG_SPLIT: 0
	.section	.text._ZN9rocsparseL35csrgemm_nnz_block_per_row_multipassILj512ELj16ELj2048EllEEvT3_PKS1_S3_PKT2_S3_S6_S3_S6_S3_PS4_S7_21rocsparse_index_base_S8_S8_bb,"axG",@progbits,_ZN9rocsparseL35csrgemm_nnz_block_per_row_multipassILj512ELj16ELj2048EllEEvT3_PKS1_S3_PKT2_S3_S6_S3_S6_S3_PS4_S7_21rocsparse_index_base_S8_S8_bb,comdat
	.globl	_ZN9rocsparseL35csrgemm_nnz_block_per_row_multipassILj512ELj16ELj2048EllEEvT3_PKS1_S3_PKT2_S3_S6_S3_S6_S3_PS4_S7_21rocsparse_index_base_S8_S8_bb ; -- Begin function _ZN9rocsparseL35csrgemm_nnz_block_per_row_multipassILj512ELj16ELj2048EllEEvT3_PKS1_S3_PKT2_S3_S6_S3_S6_S3_PS4_S7_21rocsparse_index_base_S8_S8_bb
	.p2align	8
	.type	_ZN9rocsparseL35csrgemm_nnz_block_per_row_multipassILj512ELj16ELj2048EllEEvT3_PKS1_S3_PKT2_S3_S6_S3_S6_S3_PS4_S7_21rocsparse_index_base_S8_S8_bb,@function
_ZN9rocsparseL35csrgemm_nnz_block_per_row_multipassILj512ELj16ELj2048EllEEvT3_PKS1_S3_PKT2_S3_S6_S3_S6_S3_PS4_S7_21rocsparse_index_base_S8_S8_bb: ; @_ZN9rocsparseL35csrgemm_nnz_block_per_row_multipassILj512ELj16ELj2048EllEEvT3_PKS1_S3_PKT2_S3_S6_S3_S6_S3_PS4_S7_21rocsparse_index_base_S8_S8_bb
; %bb.0:
	s_load_dwordx4 s[0:3], s[4:5], 0x8
	s_load_dwordx2 s[8:9], s[4:5], 0x18
	s_mov_b32 s7, 0
	s_waitcnt lgkmcnt(0)
	s_load_dwordx2 s[0:1], s[0:1], 0x0
	s_waitcnt lgkmcnt(0)
	s_lshl_b64 s[0:1], s[0:1], 3
	s_add_u32 s2, s2, s0
	s_addc_u32 s3, s3, s1
	s_lshl_b64 s[0:1], s[6:7], 3
	s_add_u32 s2, s2, s0
	s_addc_u32 s3, s3, s1
	v_cmp_eq_u32_e64 s[0:1], 0, v0
	s_and_saveexec_b64 s[6:7], s[0:1]
	s_cbranch_execz .LBB55_2
; %bb.1:
	v_mov_b32_e32 v2, 0
	v_mov_b32_e32 v3, v2
	ds_write_b64 v2, v[2:3] offset:2056
.LBB55_2:
	s_or_b64 exec, exec, s[6:7]
	s_load_dwordx4 s[16:19], s[4:5], 0x58
	s_load_dwordx2 s[20:21], s[2:3], 0x0
	s_mov_b64 s[22:23], 0
	s_mov_b64 s[2:3], 0
	s_waitcnt lgkmcnt(0)
	s_bitcmp1_b32 s19, 0
	s_cselect_b64 s[34:35], -1, 0
	s_bitcmp0_b32 s19, 0
	s_cbranch_scc0 .LBB55_5
; %bb.3:
	s_andn2_b64 vcc, exec, s[34:35]
	s_cbranch_vccz .LBB55_6
.LBB55_4:
	s_load_dwordx2 s[24:25], s[4:5], 0x0
	s_waitcnt lgkmcnt(0)
	v_cmp_lt_i64_e64 s[6:7], s[24:25], 1
	s_and_b64 vcc, exec, s[6:7]
	s_cbranch_vccz .LBB55_7
	s_branch .LBB55_68
.LBB55_5:
	s_lshl_b64 s[2:3], s[20:21], 3
	s_add_u32 s2, s8, s2
	s_addc_u32 s3, s9, s3
	s_load_dwordx2 s[2:3], s[2:3], 0x0
	s_waitcnt lgkmcnt(0)
	s_sub_u32 s2, s2, s16
	s_subb_u32 s3, s3, 0
	s_andn2_b64 vcc, exec, s[34:35]
	s_cbranch_vccnz .LBB55_4
.LBB55_6:
	s_lshl_b64 s[6:7], s[20:21], 3
	s_add_u32 s6, s8, s6
	s_addc_u32 s7, s9, s7
	s_load_dwordx2 s[6:7], s[6:7], 0x8
	s_waitcnt lgkmcnt(0)
	s_sub_u32 s22, s6, s16
	s_subb_u32 s23, s7, 0
	s_load_dwordx2 s[24:25], s[4:5], 0x0
	s_waitcnt lgkmcnt(0)
	v_cmp_lt_i64_e64 s[6:7], s[24:25], 1
	s_and_b64 vcc, exec, s[6:7]
	s_cbranch_vccnz .LBB55_68
.LBB55_7:
	s_load_dword s6, s[4:5], 0x64
	s_load_dwordx8 s[8:15], s[4:5], 0x20
	s_load_dwordx2 s[26:27], s[4:5], 0x50
	s_load_dwordx2 s[28:29], s[4:5], 0x40
	v_lshrrev_b32_e32 v1, 4, v0
	s_waitcnt lgkmcnt(0)
	s_bitcmp1_b32 s6, 8
	v_mov_b32_e32 v5, s3
	v_add_co_u32_e32 v4, vcc, s2, v1
	s_cselect_b64 s[30:31], -1, 0
	v_addc_co_u32_e32 v5, vcc, 0, v5, vcc
	s_lshl_b64 s[6:7], s[20:21], 3
	v_cmp_gt_i64_e32 vcc, s[22:23], v[4:5]
	s_add_u32 s14, s14, s6
	s_addc_u32 s15, s15, s7
	s_and_b64 s[34:35], s[34:35], vcc
	v_and_b32_e32 v2, 15, v0
	s_mov_b32 s19, 0
	v_subrev_co_u32_e64 v28, s[6:7], s18, v0
	s_add_u32 s59, s10, 8
	v_mov_b32_e32 v6, 0x800
	v_mov_b32_e32 v3, 0
	s_mov_b32 s33, s19
	v_cmp_eq_u32_e64 s[2:3], 15, v2
	s_mov_b32 s58, s19
	v_subb_co_u32_e64 v29, s[6:7], 0, 0, s[6:7]
	s_addc_u32 s60, s11, 0
	v_or_b32_e32 v30, 0xfffffe00, v0
	s_mov_b64 s[38:39], 0
	v_mov_b32_e32 v7, 0
	s_mov_b64 s[36:37], -1
	s_movk_i32 s61, 0x5ff
	v_mov_b32_e32 v31, 1
	s_branch .LBB55_9
.LBB55_8:                               ;   in Loop: Header=BB55_9 Depth=1
	s_or_b64 exec, exec, s[6:7]
	s_waitcnt lgkmcnt(0)
	s_barrier
	ds_read_b64 v[8:9], v3 offset:2048
	s_waitcnt lgkmcnt(0)
	s_barrier
	v_add_co_u32_e32 v6, vcc, 0x800, v8
	v_addc_co_u32_e32 v7, vcc, 0, v9, vcc
	v_cmp_gt_i64_e32 vcc, s[24:25], v[8:9]
	v_readfirstlane_b32 s38, v8
	v_readfirstlane_b32 s39, v9
	s_cbranch_vccz .LBB55_68
.LBB55_9:                               ; =>This Loop Header: Depth=1
                                        ;     Child Loop BB55_18 Depth 2
                                        ;       Child Loop BB55_26 Depth 3
                                        ;     Child Loop BB55_46 Depth 2
                                        ;     Child Loop BB55_58 Depth 2
	;; [unrolled: 1-line block ×4, first 2 shown]
	s_and_saveexec_b64 s[6:7], s[36:37]
	s_cbranch_execnz .LBB55_37
; %bb.10:                               ;   in Loop: Header=BB55_9 Depth=1
	s_or_b64 exec, exec, s[6:7]
	s_and_saveexec_b64 s[6:7], s[36:37]
	s_cbranch_execnz .LBB55_38
.LBB55_11:                              ;   in Loop: Header=BB55_9 Depth=1
	s_or_b64 exec, exec, s[6:7]
	s_and_saveexec_b64 s[6:7], s[36:37]
	s_cbranch_execnz .LBB55_39
.LBB55_12:                              ;   in Loop: Header=BB55_9 Depth=1
	s_or_b64 exec, exec, s[6:7]
	s_and_saveexec_b64 s[6:7], s[36:37]
	s_cbranch_execnz .LBB55_40
.LBB55_13:                              ;   in Loop: Header=BB55_9 Depth=1
	s_or_b64 exec, exec, s[6:7]
	s_and_saveexec_b64 s[6:7], s[0:1]
	s_cbranch_execz .LBB55_15
.LBB55_14:                              ;   in Loop: Header=BB55_9 Depth=1
	v_pk_mov_b32 v[8:9], s[24:25], s[24:25] op_sel:[0,1]
	ds_write_b64 v3, v[8:9] offset:2048
.LBB55_15:                              ;   in Loop: Header=BB55_9 Depth=1
	s_or_b64 exec, exec, s[6:7]
	v_pk_mov_b32 v[8:9], s[24:25], s[24:25] op_sel:[0,1]
	s_waitcnt lgkmcnt(0)
	s_barrier
	s_and_saveexec_b64 s[40:41], s[34:35]
	s_cbranch_execz .LBB55_42
; %bb.16:                               ;   in Loop: Header=BB55_9 Depth=1
	s_cmp_lg_u64 s[38:39], 0
	s_mov_b64 s[42:43], 0
	s_cselect_b64 s[44:45], -1, 0
	v_pk_mov_b32 v[8:9], s[24:25], s[24:25] op_sel:[0,1]
	v_pk_mov_b32 v[10:11], v[4:5], v[4:5] op_sel:[0,1]
	s_branch .LBB55_18
.LBB55_17:                              ;   in Loop: Header=BB55_18 Depth=2
	s_or_b64 exec, exec, s[6:7]
	v_add_co_u32_e32 v10, vcc, 32, v10
	v_addc_co_u32_e32 v11, vcc, 0, v11, vcc
	v_cmp_le_i64_e32 vcc, s[22:23], v[10:11]
	s_or_b64 s[42:43], vcc, s[42:43]
	s_andn2_b64 exec, exec, s[42:43]
	s_cbranch_execz .LBB55_41
.LBB55_18:                              ;   Parent Loop BB55_9 Depth=1
                                        ; =>  This Loop Header: Depth=2
                                        ;       Child Loop BB55_26 Depth 3
	v_lshlrev_b64 v[12:13], 3, v[10:11]
	v_mov_b32_e32 v1, s9
	v_add_co_u32_e32 v14, vcc, s8, v12
	v_addc_co_u32_e32 v15, vcc, v1, v13, vcc
	global_load_dwordx2 v[16:17], v[14:15], off
	s_and_b64 vcc, exec, s[44:45]
	s_cbranch_vccz .LBB55_20
; %bb.19:                               ;   in Loop: Header=BB55_18 Depth=2
	v_mov_b32_e32 v1, s27
	v_add_co_u32_e32 v14, vcc, s26, v12
	v_addc_co_u32_e32 v15, vcc, v1, v13, vcc
	global_load_dwordx2 v[14:15], v[14:15], off
	s_mov_b64 s[6:7], 0
	s_branch .LBB55_21
.LBB55_20:                              ;   in Loop: Header=BB55_18 Depth=2
	s_mov_b64 s[6:7], -1
                                        ; implicit-def: $vgpr14_vgpr15
.LBB55_21:                              ;   in Loop: Header=BB55_18 Depth=2
	v_mov_b32_e32 v1, s19
	s_waitcnt vmcnt(0)
	v_subrev_co_u32_e32 v16, vcc, s16, v16
	v_subb_co_u32_e32 v17, vcc, v17, v1, vcc
	s_andn2_b64 vcc, exec, s[6:7]
	v_lshlrev_b64 v[16:17], 3, v[16:17]
	s_cbranch_vccnz .LBB55_23
; %bb.22:                               ;   in Loop: Header=BB55_18 Depth=2
	v_mov_b32_e32 v1, s11
	v_add_co_u32_e32 v14, vcc, s10, v16
	v_addc_co_u32_e32 v15, vcc, v1, v17, vcc
	global_load_dwordx2 v[14:15], v[14:15], off
	v_mov_b32_e32 v1, s33
	s_waitcnt vmcnt(0)
	v_subrev_co_u32_e32 v14, vcc, s17, v14
	v_subb_co_u32_e32 v15, vcc, v15, v1, vcc
.LBB55_23:                              ;   in Loop: Header=BB55_18 Depth=2
	v_mov_b32_e32 v1, s60
	v_add_co_u32_e32 v16, vcc, s59, v16
	v_addc_co_u32_e32 v17, vcc, v1, v17, vcc
	global_load_dwordx2 v[16:17], v[16:17], off
	v_mov_b32_e32 v1, s33
	s_waitcnt vmcnt(0)
	v_subrev_co_u32_e32 v16, vcc, s17, v16
	v_subb_co_u32_e32 v17, vcc, v17, v1, vcc
	v_add_co_u32_e32 v14, vcc, v14, v2
	v_addc_co_u32_e32 v15, vcc, 0, v15, vcc
	v_cmp_lt_i64_e32 vcc, v[14:15], v[16:17]
	s_and_saveexec_b64 s[46:47], vcc
	s_cbranch_execz .LBB55_35
; %bb.24:                               ;   in Loop: Header=BB55_18 Depth=2
	v_lshlrev_b64 v[18:19], 3, v[14:15]
	v_mov_b32_e32 v1, s13
	v_add_co_u32_e32 v18, vcc, s12, v18
	v_addc_co_u32_e32 v19, vcc, v1, v19, vcc
	s_mov_b64 s[50:51], 0
	v_pk_mov_b32 v[22:23], v[14:15], v[14:15] op_sel:[0,1]
                                        ; implicit-def: $sgpr48_sgpr49
                                        ; implicit-def: $sgpr52_sgpr53
	s_branch .LBB55_26
.LBB55_25:                              ;   in Loop: Header=BB55_26 Depth=3
	s_or_b64 exec, exec, s[54:55]
	s_and_b64 s[6:7], exec, s[56:57]
	s_or_b64 s[50:51], s[6:7], s[50:51]
	s_andn2_b64 s[6:7], s[48:49], exec
	s_and_b64 s[48:49], s[52:53], exec
	s_or_b64 s[48:49], s[6:7], s[48:49]
	v_pk_mov_b32 v[22:23], v[24:25], v[24:25] op_sel:[0,1]
	s_andn2_b64 exec, exec, s[50:51]
	s_cbranch_execz .LBB55_32
.LBB55_26:                              ;   Parent Loop BB55_9 Depth=1
                                        ;     Parent Loop BB55_18 Depth=2
                                        ; =>    This Inner Loop Header: Depth=3
	global_load_dwordx2 v[20:21], v[18:19], off
	v_mov_b32_e32 v1, s33
	s_waitcnt vmcnt(0)
	v_subrev_co_u32_e32 v20, vcc, s17, v20
	v_subb_co_u32_e32 v21, vcc, v21, v1, vcc
	v_cmp_lt_i64_e32 vcc, v[20:21], v[6:7]
	v_cmp_gt_i64_e64 s[6:7], s[38:39], v[20:21]
	s_xor_b64 s[54:55], vcc, -1
	s_or_b64 s[56:57], s[6:7], s[54:55]
	s_mov_b64 s[6:7], 0
                                        ; implicit-def: $sgpr54_sgpr55
	s_and_saveexec_b64 s[62:63], s[56:57]
	s_xor_b64 s[56:57], exec, s[62:63]
; %bb.27:                               ;   in Loop: Header=BB55_26 Depth=3
	s_mov_b64 s[54:55], -1
	s_and_b64 s[6:7], vcc, exec
; %bb.28:                               ;   in Loop: Header=BB55_26 Depth=3
	s_andn2_saveexec_b64 s[56:57], s[56:57]
	s_cbranch_execz .LBB55_30
; %bb.29:                               ;   in Loop: Header=BB55_26 Depth=3
	v_subrev_u32_e32 v1, s38, v20
	s_or_b64 s[6:7], s[6:7], exec
	ds_write_b8 v1, v31
.LBB55_30:                              ;   in Loop: Header=BB55_26 Depth=3
	s_or_b64 exec, exec, s[56:57]
	s_andn2_b64 s[52:53], s[52:53], exec
	s_and_b64 s[54:55], s[54:55], exec
	s_mov_b64 s[56:57], -1
	s_or_b64 s[52:53], s[52:53], s[54:55]
	v_pk_mov_b32 v[26:27], v[22:23], v[22:23] op_sel:[0,1]
                                        ; implicit-def: $vgpr24_vgpr25
	s_and_saveexec_b64 s[54:55], s[6:7]
	s_cbranch_execz .LBB55_25
; %bb.31:                               ;   in Loop: Header=BB55_26 Depth=3
	v_add_co_u32_e32 v24, vcc, 16, v22
	v_addc_co_u32_e32 v25, vcc, 0, v23, vcc
	v_add_co_u32_e32 v18, vcc, 0x80, v18
	v_addc_co_u32_e32 v19, vcc, 0, v19, vcc
	v_cmp_ge_i64_e32 vcc, v[24:25], v[16:17]
	s_andn2_b64 s[52:53], s[52:53], exec
	s_orn2_b64 s[56:57], vcc, exec
	v_pk_mov_b32 v[26:27], v[22:23], v[22:23] op_sel:[0,1]
	s_branch .LBB55_25
.LBB55_32:                              ;   in Loop: Header=BB55_18 Depth=2
	s_or_b64 exec, exec, s[50:51]
	s_and_saveexec_b64 s[6:7], s[48:49]
	s_xor_b64 s[6:7], exec, s[6:7]
; %bb.33:                               ;   in Loop: Header=BB55_18 Depth=2
	v_cmp_lt_i64_e32 vcc, v[20:21], v[8:9]
	v_cndmask_b32_e32 v9, v9, v21, vcc
	v_cndmask_b32_e32 v8, v8, v20, vcc
	v_pk_mov_b32 v[14:15], v[26:27], v[26:27] op_sel:[0,1]
; %bb.34:                               ;   in Loop: Header=BB55_18 Depth=2
	s_or_b64 exec, exec, s[6:7]
.LBB55_35:                              ;   in Loop: Header=BB55_18 Depth=2
	s_or_b64 exec, exec, s[46:47]
	v_mov_b32_dpp v16, v14 row_shr:1 row_mask:0xf bank_mask:0xf
	v_mov_b32_dpp v17, v15 row_shr:1 row_mask:0xf bank_mask:0xf
	v_cmp_lt_i64_e32 vcc, v[16:17], v[14:15]
	v_cndmask_b32_e32 v15, v15, v17, vcc
	v_cndmask_b32_e32 v14, v14, v16, vcc
	s_nop 0
	v_mov_b32_dpp v17, v15 row_shr:2 row_mask:0xf bank_mask:0xf
	v_mov_b32_dpp v16, v14 row_shr:2 row_mask:0xf bank_mask:0xf
	v_cmp_lt_i64_e32 vcc, v[16:17], v[14:15]
	v_cndmask_b32_e32 v15, v15, v17, vcc
	v_cndmask_b32_e32 v14, v14, v16, vcc
	s_nop 0
	;; [unrolled: 6-line block ×3, first 2 shown]
	v_mov_b32_dpp v17, v15 row_shr:8 row_mask:0xf bank_mask:0xc
	v_mov_b32_dpp v16, v14 row_shr:8 row_mask:0xf bank_mask:0xc
	s_and_saveexec_b64 s[6:7], s[2:3]
	s_cbranch_execz .LBB55_17
; %bb.36:                               ;   in Loop: Header=BB55_18 Depth=2
	v_mov_b32_e32 v1, s27
	v_add_co_u32_e32 v12, vcc, s26, v12
	v_addc_co_u32_e32 v13, vcc, v1, v13, vcc
	v_cmp_lt_i64_e32 vcc, v[16:17], v[14:15]
	v_cndmask_b32_e32 v15, v15, v17, vcc
	v_cndmask_b32_e32 v14, v14, v16, vcc
	global_store_dwordx2 v[12:13], v[14:15], off
	s_branch .LBB55_17
.LBB55_37:                              ;   in Loop: Header=BB55_9 Depth=1
	ds_write_b8 v0, v3
	s_or_b64 exec, exec, s[6:7]
	s_and_saveexec_b64 s[6:7], s[36:37]
	s_cbranch_execz .LBB55_11
.LBB55_38:                              ;   in Loop: Header=BB55_9 Depth=1
	ds_write_b8 v0, v3 offset:512
	s_or_b64 exec, exec, s[6:7]
	s_and_saveexec_b64 s[6:7], s[36:37]
	s_cbranch_execz .LBB55_12
.LBB55_39:                              ;   in Loop: Header=BB55_9 Depth=1
	ds_write_b8 v0, v3 offset:1024
	s_or_b64 exec, exec, s[6:7]
	s_and_saveexec_b64 s[6:7], s[36:37]
	s_cbranch_execz .LBB55_13
.LBB55_40:                              ;   in Loop: Header=BB55_9 Depth=1
	ds_write_b8 v0, v3 offset:1536
	s_or_b64 exec, exec, s[6:7]
	s_and_saveexec_b64 s[6:7], s[0:1]
	s_cbranch_execnz .LBB55_14
	s_branch .LBB55_15
.LBB55_41:                              ;   in Loop: Header=BB55_9 Depth=1
	s_or_b64 exec, exec, s[42:43]
.LBB55_42:                              ;   in Loop: Header=BB55_9 Depth=1
	s_or_b64 exec, exec, s[40:41]
	s_andn2_b64 vcc, exec, s[30:31]
	s_cbranch_vccnz .LBB55_56
; %bb.43:                               ;   in Loop: Header=BB55_9 Depth=1
	s_load_dwordx4 s[40:43], s[14:15], 0x0
	s_waitcnt lgkmcnt(0)
	s_sub_u32 s42, s42, s18
	v_mov_b32_e32 v1, s41
	v_add_co_u32_e32 v10, vcc, s40, v28
	s_subb_u32 s43, s43, 0
	v_addc_co_u32_e32 v11, vcc, v29, v1, vcc
	v_cmp_gt_i64_e32 vcc, s[42:43], v[10:11]
	s_and_saveexec_b64 s[40:41], vcc
	s_cbranch_execz .LBB55_55
; %bb.44:                               ;   in Loop: Header=BB55_9 Depth=1
	v_lshlrev_b64 v[12:13], 3, v[10:11]
	v_mov_b32_e32 v1, s29
	v_add_co_u32_e32 v12, vcc, s28, v12
	v_addc_co_u32_e32 v13, vcc, v1, v13, vcc
	s_mov_b64 s[44:45], 0
                                        ; implicit-def: $sgpr46_sgpr47
                                        ; implicit-def: $sgpr48_sgpr49
	s_branch .LBB55_46
.LBB55_45:                              ;   in Loop: Header=BB55_46 Depth=2
	s_or_b64 exec, exec, s[50:51]
	s_and_b64 s[6:7], exec, s[52:53]
	s_or_b64 s[44:45], s[6:7], s[44:45]
	s_andn2_b64 s[6:7], s[46:47], exec
	s_and_b64 s[46:47], s[48:49], exec
	s_or_b64 s[46:47], s[6:7], s[46:47]
	s_andn2_b64 exec, exec, s[44:45]
	s_cbranch_execz .LBB55_52
.LBB55_46:                              ;   Parent Loop BB55_9 Depth=1
                                        ; =>  This Inner Loop Header: Depth=2
	global_load_dwordx2 v[14:15], v[12:13], off
	v_mov_b32_e32 v1, s58
	s_waitcnt vmcnt(0)
	v_subrev_co_u32_e32 v14, vcc, s18, v14
	v_subb_co_u32_e32 v15, vcc, v15, v1, vcc
	v_cmp_lt_i64_e32 vcc, v[14:15], v[6:7]
	v_cmp_gt_i64_e64 s[6:7], s[38:39], v[14:15]
	s_xor_b64 s[50:51], vcc, -1
	s_or_b64 s[52:53], s[6:7], s[50:51]
	s_mov_b64 s[6:7], 0
                                        ; implicit-def: $sgpr50_sgpr51
	s_and_saveexec_b64 s[54:55], s[52:53]
	s_xor_b64 s[52:53], exec, s[54:55]
; %bb.47:                               ;   in Loop: Header=BB55_46 Depth=2
	s_mov_b64 s[50:51], -1
	s_and_b64 s[6:7], vcc, exec
; %bb.48:                               ;   in Loop: Header=BB55_46 Depth=2
	s_andn2_saveexec_b64 s[52:53], s[52:53]
	s_cbranch_execz .LBB55_50
; %bb.49:                               ;   in Loop: Header=BB55_46 Depth=2
	v_subrev_u32_e32 v1, s38, v14
	s_or_b64 s[6:7], s[6:7], exec
	ds_write_b8 v1, v31
.LBB55_50:                              ;   in Loop: Header=BB55_46 Depth=2
	s_or_b64 exec, exec, s[52:53]
	s_andn2_b64 s[48:49], s[48:49], exec
	s_and_b64 s[50:51], s[50:51], exec
	s_mov_b64 s[52:53], -1
	s_or_b64 s[48:49], s[48:49], s[50:51]
	s_and_saveexec_b64 s[50:51], s[6:7]
	s_cbranch_execz .LBB55_45
; %bb.51:                               ;   in Loop: Header=BB55_46 Depth=2
	v_add_co_u32_e32 v10, vcc, 0x200, v10
	v_addc_co_u32_e32 v11, vcc, 0, v11, vcc
	v_add_co_u32_e32 v12, vcc, 0x1000, v12
	v_addc_co_u32_e32 v13, vcc, 0, v13, vcc
	v_cmp_le_i64_e32 vcc, s[42:43], v[10:11]
	s_andn2_b64 s[48:49], s[48:49], exec
	s_orn2_b64 s[52:53], vcc, exec
	s_branch .LBB55_45
.LBB55_52:                              ;   in Loop: Header=BB55_9 Depth=1
	s_or_b64 exec, exec, s[44:45]
	s_and_saveexec_b64 s[6:7], s[46:47]
	s_xor_b64 s[6:7], exec, s[6:7]
; %bb.53:                               ;   in Loop: Header=BB55_9 Depth=1
	v_cmp_lt_i64_e32 vcc, v[14:15], v[8:9]
	v_cndmask_b32_e32 v9, v9, v15, vcc
	v_cndmask_b32_e32 v8, v8, v14, vcc
; %bb.54:                               ;   in Loop: Header=BB55_9 Depth=1
	s_or_b64 exec, exec, s[6:7]
.LBB55_55:                              ;   in Loop: Header=BB55_9 Depth=1
	s_or_b64 exec, exec, s[40:41]
.LBB55_56:                              ;   in Loop: Header=BB55_9 Depth=1
	v_mov_b32_dpp v6, v8 row_shr:1 row_mask:0xf bank_mask:0xf
	v_mov_b32_dpp v7, v9 row_shr:1 row_mask:0xf bank_mask:0xf
	v_cmp_lt_i64_e32 vcc, v[6:7], v[8:9]
	v_cndmask_b32_e32 v7, v9, v7, vcc
	v_cndmask_b32_e32 v6, v8, v6, vcc
	s_nop 0
	v_mov_b32_dpp v9, v7 row_shr:2 row_mask:0xf bank_mask:0xf
	v_mov_b32_dpp v8, v6 row_shr:2 row_mask:0xf bank_mask:0xf
	v_cmp_lt_i64_e32 vcc, v[8:9], v[6:7]
	v_cndmask_b32_e32 v7, v7, v9, vcc
	v_cndmask_b32_e32 v6, v6, v8, vcc
	s_nop 0
	;; [unrolled: 6-line block ×3, first 2 shown]
	v_mov_b32_dpp v9, v7 row_shr:8 row_mask:0xf bank_mask:0xc
	v_mov_b32_dpp v8, v6 row_shr:8 row_mask:0xf bank_mask:0xc
	s_and_saveexec_b64 s[6:7], s[2:3]
	s_cbranch_execz .LBB55_61
; %bb.57:                               ;   in Loop: Header=BB55_9 Depth=1
	v_cmp_lt_i64_e32 vcc, v[8:9], v[6:7]
	s_mov_b64 s[40:41], exec
	v_cndmask_b32_e32 v1, v7, v9, vcc
	v_cndmask_b32_e32 v6, v6, v8, vcc
	s_mov_b64 s[38:39], -1
.LBB55_58:                              ;   Parent Loop BB55_9 Depth=1
                                        ; =>  This Inner Loop Header: Depth=2
	s_ff1_i32_b64 s44, s[40:41]
	v_readlane_b32 s45, v1, s44
	v_readlane_b32 s46, v6, s44
	v_mov_b32_e32 v8, s46
	v_mov_b32_e32 v9, s45
	v_cmp_lt_u64_e32 vcc, s[38:39], v[8:9]
	s_and_b64 s[42:43], vcc, exec
	s_cselect_b32 s39, s39, s45
	s_cselect_b32 s38, s38, s46
	s_lshl_b64 s[42:43], 1, s44
	s_andn2_b64 s[40:41], s[40:41], s[42:43]
	s_cmp_lg_u64 s[40:41], 0
	s_cbranch_scc1 .LBB55_58
; %bb.59:                               ;   in Loop: Header=BB55_9 Depth=1
	v_mbcnt_lo_u32_b32 v1, exec_lo, 0
	v_mbcnt_hi_u32_b32 v1, exec_hi, v1
	v_cmp_eq_u32_e32 vcc, 0, v1
	s_and_saveexec_b64 s[40:41], vcc
	s_xor_b64 s[40:41], exec, s[40:41]
	s_cbranch_execz .LBB55_61
; %bb.60:                               ;   in Loop: Header=BB55_9 Depth=1
	v_pk_mov_b32 v[6:7], s[38:39], s[38:39] op_sel:[0,1]
	ds_min_u64 v3, v[6:7] offset:2048
.LBB55_61:                              ;   in Loop: Header=BB55_9 Depth=1
	s_or_b64 exec, exec, s[6:7]
	s_mov_b64 s[6:7], 0
	v_pk_mov_b32 v[6:7], 0, 0
	v_mov_b32_e32 v1, v30
	s_waitcnt lgkmcnt(0)
	s_barrier
.LBB55_62:                              ;   Parent Loop BB55_9 Depth=1
                                        ; =>  This Inner Loop Header: Depth=2
	ds_read_u8 v8, v1 offset:512
	v_add_u32_e32 v1, 0x200, v1
	v_cmp_lt_u32_e32 vcc, s61, v1
	s_or_b64 s[6:7], vcc, s[6:7]
	s_waitcnt lgkmcnt(0)
	v_and_b32_e32 v8, 0xffff, v8
	v_add_co_u32_e32 v6, vcc, v6, v8
	v_addc_co_u32_e32 v7, vcc, 0, v7, vcc
	s_andn2_b64 exec, exec, s[6:7]
	s_cbranch_execnz .LBB55_62
; %bb.63:                               ;   in Loop: Header=BB55_9 Depth=1
	s_or_b64 exec, exec, s[6:7]
	v_mov_b32_dpp v1, v6 row_shr:1 row_mask:0xf bank_mask:0xf
	v_add_co_u32_e32 v1, vcc, v6, v1
	v_addc_co_u32_e32 v6, vcc, 0, v7, vcc
	v_mov_b32_dpp v8, v7 row_shr:1 row_mask:0xf bank_mask:0xf
	v_add_co_u32_e32 v7, vcc, 0, v1
	v_addc_co_u32_e32 v6, vcc, v8, v6, vcc
	v_mov_b32_dpp v1, v1 row_shr:2 row_mask:0xf bank_mask:0xf
	v_add_co_u32_e32 v1, vcc, v7, v1
	v_mov_b32_dpp v8, v6 row_shr:2 row_mask:0xf bank_mask:0xf
	v_addc_co_u32_e32 v6, vcc, 0, v6, vcc
	v_add_co_u32_e32 v7, vcc, 0, v1
	v_addc_co_u32_e32 v6, vcc, v6, v8, vcc
	v_mov_b32_dpp v1, v1 row_shr:4 row_mask:0xf bank_mask:0xe
	s_nop 0
	v_mov_b32_dpp v8, v6 row_shr:4 row_mask:0xf bank_mask:0xe
	v_add_co_u32_e32 v1, vcc, v1, v7
	v_addc_co_u32_e32 v6, vcc, v8, v6, vcc
	s_nop 0
	v_mov_b32_dpp v7, v1 row_shr:8 row_mask:0xf bank_mask:0xc
	v_mov_b32_dpp v8, v6 row_shr:8 row_mask:0xf bank_mask:0xc
	s_and_saveexec_b64 s[6:7], s[2:3]
	s_cbranch_execz .LBB55_8
; %bb.64:                               ;   in Loop: Header=BB55_9 Depth=1
	v_add_co_u32_e32 v1, vcc, v7, v1
	s_mov_b64 s[40:41], exec
	v_addc_co_u32_e32 v6, vcc, v8, v6, vcc
	s_mov_b64 s[38:39], 0
.LBB55_65:                              ;   Parent Loop BB55_9 Depth=1
                                        ; =>  This Inner Loop Header: Depth=2
	s_ff1_i32_b64 s42, s[40:41]
	v_readlane_b32 s44, v1, s42
	v_readlane_b32 s43, v6, s42
	s_add_u32 s38, s38, s44
	s_addc_u32 s39, s39, s43
	s_lshl_b64 s[42:43], 1, s42
	s_andn2_b64 s[40:41], s[40:41], s[42:43]
	s_cmp_lg_u64 s[40:41], 0
	s_cbranch_scc1 .LBB55_65
; %bb.66:                               ;   in Loop: Header=BB55_9 Depth=1
	v_mbcnt_lo_u32_b32 v1, exec_lo, 0
	v_mbcnt_hi_u32_b32 v1, exec_hi, v1
	v_cmp_eq_u32_e32 vcc, 0, v1
	s_and_saveexec_b64 s[40:41], vcc
	s_xor_b64 s[40:41], exec, s[40:41]
	s_cbranch_execz .LBB55_8
; %bb.67:                               ;   in Loop: Header=BB55_9 Depth=1
	v_pk_mov_b32 v[6:7], s[38:39], s[38:39] op_sel:[0,1]
	ds_add_u64 v3, v[6:7] offset:2056
	s_branch .LBB55_8
.LBB55_68:
	s_and_saveexec_b64 s[2:3], s[0:1]
	s_cbranch_execz .LBB55_70
; %bb.69:
	s_load_dwordx2 s[0:1], s[4:5], 0x48
	v_mov_b32_e32 v2, 0
	ds_read_b64 v[0:1], v2 offset:2056
	s_lshl_b64 s[2:3], s[20:21], 3
	s_waitcnt lgkmcnt(0)
	s_add_u32 s0, s0, s2
	s_addc_u32 s1, s1, s3
	global_store_dwordx2 v2, v[0:1], s[0:1]
.LBB55_70:
	s_endpgm
	.section	.rodata,"a",@progbits
	.p2align	6, 0x0
	.amdhsa_kernel _ZN9rocsparseL35csrgemm_nnz_block_per_row_multipassILj512ELj16ELj2048EllEEvT3_PKS1_S3_PKT2_S3_S6_S3_S6_S3_PS4_S7_21rocsparse_index_base_S8_S8_bb
		.amdhsa_group_segment_fixed_size 2064
		.amdhsa_private_segment_fixed_size 0
		.amdhsa_kernarg_size 104
		.amdhsa_user_sgpr_count 6
		.amdhsa_user_sgpr_private_segment_buffer 1
		.amdhsa_user_sgpr_dispatch_ptr 0
		.amdhsa_user_sgpr_queue_ptr 0
		.amdhsa_user_sgpr_kernarg_segment_ptr 1
		.amdhsa_user_sgpr_dispatch_id 0
		.amdhsa_user_sgpr_flat_scratch_init 0
		.amdhsa_user_sgpr_kernarg_preload_length 0
		.amdhsa_user_sgpr_kernarg_preload_offset 0
		.amdhsa_user_sgpr_private_segment_size 0
		.amdhsa_uses_dynamic_stack 0
		.amdhsa_system_sgpr_private_segment_wavefront_offset 0
		.amdhsa_system_sgpr_workgroup_id_x 1
		.amdhsa_system_sgpr_workgroup_id_y 0
		.amdhsa_system_sgpr_workgroup_id_z 0
		.amdhsa_system_sgpr_workgroup_info 0
		.amdhsa_system_vgpr_workitem_id 0
		.amdhsa_next_free_vgpr 32
		.amdhsa_next_free_sgpr 64
		.amdhsa_accum_offset 32
		.amdhsa_reserve_vcc 1
		.amdhsa_reserve_flat_scratch 0
		.amdhsa_float_round_mode_32 0
		.amdhsa_float_round_mode_16_64 0
		.amdhsa_float_denorm_mode_32 3
		.amdhsa_float_denorm_mode_16_64 3
		.amdhsa_dx10_clamp 1
		.amdhsa_ieee_mode 1
		.amdhsa_fp16_overflow 0
		.amdhsa_tg_split 0
		.amdhsa_exception_fp_ieee_invalid_op 0
		.amdhsa_exception_fp_denorm_src 0
		.amdhsa_exception_fp_ieee_div_zero 0
		.amdhsa_exception_fp_ieee_overflow 0
		.amdhsa_exception_fp_ieee_underflow 0
		.amdhsa_exception_fp_ieee_inexact 0
		.amdhsa_exception_int_div_zero 0
	.end_amdhsa_kernel
	.section	.text._ZN9rocsparseL35csrgemm_nnz_block_per_row_multipassILj512ELj16ELj2048EllEEvT3_PKS1_S3_PKT2_S3_S6_S3_S6_S3_PS4_S7_21rocsparse_index_base_S8_S8_bb,"axG",@progbits,_ZN9rocsparseL35csrgemm_nnz_block_per_row_multipassILj512ELj16ELj2048EllEEvT3_PKS1_S3_PKT2_S3_S6_S3_S6_S3_PS4_S7_21rocsparse_index_base_S8_S8_bb,comdat
.Lfunc_end55:
	.size	_ZN9rocsparseL35csrgemm_nnz_block_per_row_multipassILj512ELj16ELj2048EllEEvT3_PKS1_S3_PKT2_S3_S6_S3_S6_S3_PS4_S7_21rocsparse_index_base_S8_S8_bb, .Lfunc_end55-_ZN9rocsparseL35csrgemm_nnz_block_per_row_multipassILj512ELj16ELj2048EllEEvT3_PKS1_S3_PKT2_S3_S6_S3_S6_S3_PS4_S7_21rocsparse_index_base_S8_S8_bb
                                        ; -- End function
	.section	.AMDGPU.csdata,"",@progbits
; Kernel info:
; codeLenInByte = 2312
; NumSgprs: 68
; NumVgprs: 32
; NumAgprs: 0
; TotalNumVgprs: 32
; ScratchSize: 0
; MemoryBound: 0
; FloatMode: 240
; IeeeMode: 1
; LDSByteSize: 2064 bytes/workgroup (compile time only)
; SGPRBlocks: 8
; VGPRBlocks: 3
; NumSGPRsForWavesPerEU: 68
; NumVGPRsForWavesPerEU: 32
; AccumOffset: 32
; Occupancy: 8
; WaveLimiterHint : 1
; COMPUTE_PGM_RSRC2:SCRATCH_EN: 0
; COMPUTE_PGM_RSRC2:USER_SGPR: 6
; COMPUTE_PGM_RSRC2:TRAP_HANDLER: 0
; COMPUTE_PGM_RSRC2:TGID_X_EN: 1
; COMPUTE_PGM_RSRC2:TGID_Y_EN: 0
; COMPUTE_PGM_RSRC2:TGID_Z_EN: 0
; COMPUTE_PGM_RSRC2:TIDIG_COMP_CNT: 0
; COMPUTE_PGM_RSRC3_GFX90A:ACCUM_OFFSET: 7
; COMPUTE_PGM_RSRC3_GFX90A:TG_SPLIT: 0
	.text
	.p2alignl 6, 3212836864
	.fill 256, 4, 3212836864
	.type	__hip_cuid_bc81bbd6df108999,@object ; @__hip_cuid_bc81bbd6df108999
	.section	.bss,"aw",@nobits
	.globl	__hip_cuid_bc81bbd6df108999
__hip_cuid_bc81bbd6df108999:
	.byte	0                               ; 0x0
	.size	__hip_cuid_bc81bbd6df108999, 1

	.ident	"AMD clang version 19.0.0git (https://github.com/RadeonOpenCompute/llvm-project roc-6.4.0 25133 c7fe45cf4b819c5991fe208aaa96edf142730f1d)"
	.section	".note.GNU-stack","",@progbits
	.addrsig
	.addrsig_sym _ZN9rocsparse13shared_memoryE
	.addrsig_sym __hip_cuid_bc81bbd6df108999
	.amdgpu_metadata
---
amdhsa.kernels:
  - .agpr_count:     0
    .args:
      - .offset:         0
        .size:           4
        .value_kind:     by_value
      - .actual_access:  read_only
        .address_space:  global
        .offset:         8
        .size:           8
        .value_kind:     global_buffer
      - .actual_access:  read_only
        .address_space:  global
        .offset:         16
        .size:           8
        .value_kind:     global_buffer
      - .actual_access:  read_only
        .address_space:  global
        .offset:         24
        .size:           8
        .value_kind:     global_buffer
      - .actual_access:  read_only
        .address_space:  global
        .offset:         32
        .size:           8
        .value_kind:     global_buffer
      - .actual_access:  write_only
        .address_space:  global
        .offset:         40
        .size:           8
        .value_kind:     global_buffer
      - .offset:         48
        .size:           4
        .value_kind:     by_value
      - .offset:         52
        .size:           1
        .value_kind:     by_value
      - .offset:         53
        .size:           1
        .value_kind:     by_value
    .group_segment_fixed_size: 0
    .kernarg_segment_align: 8
    .kernarg_segment_size: 56
    .language:       OpenCL C
    .language_version:
      - 2
      - 0
    .max_flat_workgroup_size: 256
    .name:           _ZN9rocsparseL29csrgemm_intermediate_productsILj256ELj8EiiEEvT2_PKT1_PKS1_S4_S4_PS2_21rocsparse_index_base_bb
    .private_segment_fixed_size: 0
    .sgpr_count:     26
    .sgpr_spill_count: 0
    .symbol:         _ZN9rocsparseL29csrgemm_intermediate_productsILj256ELj8EiiEEvT2_PKT1_PKS1_S4_S4_PS2_21rocsparse_index_base_bb.kd
    .uniform_work_group_size: 1
    .uses_dynamic_stack: false
    .vgpr_count:     22
    .vgpr_spill_count: 0
    .wavefront_size: 64
  - .agpr_count:     0
    .args:
      - .offset:         0
        .size:           4
        .value_kind:     by_value
      - .address_space:  global
        .offset:         8
        .size:           8
        .value_kind:     global_buffer
      - .actual_access:  write_only
        .address_space:  global
        .offset:         16
        .size:           8
        .value_kind:     global_buffer
      - .offset:         24
        .size:           4
        .value_kind:     by_value
      - .offset:         32
        .size:           4
        .value_kind:     hidden_block_count_x
      - .offset:         36
        .size:           4
        .value_kind:     hidden_block_count_y
      - .offset:         40
        .size:           4
        .value_kind:     hidden_block_count_z
      - .offset:         44
        .size:           2
        .value_kind:     hidden_group_size_x
      - .offset:         46
        .size:           2
        .value_kind:     hidden_group_size_y
      - .offset:         48
        .size:           2
        .value_kind:     hidden_group_size_z
      - .offset:         50
        .size:           2
        .value_kind:     hidden_remainder_x
      - .offset:         52
        .size:           2
        .value_kind:     hidden_remainder_y
      - .offset:         54
        .size:           2
        .value_kind:     hidden_remainder_z
      - .offset:         72
        .size:           8
        .value_kind:     hidden_global_offset_x
      - .offset:         80
        .size:           8
        .value_kind:     hidden_global_offset_y
      - .offset:         88
        .size:           8
        .value_kind:     hidden_global_offset_z
      - .offset:         96
        .size:           2
        .value_kind:     hidden_grid_dims
    .group_segment_fixed_size: 11264
    .kernarg_segment_align: 8
    .kernarg_segment_size: 288
    .language:       OpenCL C
    .language_version:
      - 2
      - 0
    .max_flat_workgroup_size: 256
    .name:           _ZN9rocsparseL26csrgemm_group_reduce_part1ILj256ELj11EiiEEvT2_PT1_PS1_j
    .private_segment_fixed_size: 0
    .sgpr_count:     50
    .sgpr_spill_count: 0
    .symbol:         _ZN9rocsparseL26csrgemm_group_reduce_part1ILj256ELj11EiiEEvT2_PT1_PS1_j.kd
    .uniform_work_group_size: 1
    .uses_dynamic_stack: false
    .vgpr_count:     22
    .vgpr_spill_count: 0
    .wavefront_size: 64
  - .agpr_count:     0
    .args:
      - .address_space:  global
        .offset:         0
        .size:           8
        .value_kind:     global_buffer
    .group_segment_fixed_size: 11264
    .kernarg_segment_align: 8
    .kernarg_segment_size: 8
    .language:       OpenCL C
    .language_version:
      - 2
      - 0
    .max_flat_workgroup_size: 256
    .name:           _ZN9rocsparseL26csrgemm_group_reduce_part3ILj256ELj11EiEEvPT1_
    .private_segment_fixed_size: 0
    .sgpr_count:     10
    .sgpr_spill_count: 0
    .symbol:         _ZN9rocsparseL26csrgemm_group_reduce_part3ILj256ELj11EiEEvPT1_.kd
    .uniform_work_group_size: 1
    .uses_dynamic_stack: false
    .vgpr_count:     22
    .vgpr_spill_count: 0
    .wavefront_size: 64
  - .agpr_count:     0
    .args:
      - .offset:         0
        .size:           4
        .value_kind:     by_value
      - .actual_access:  read_only
        .address_space:  global
        .offset:         8
        .size:           8
        .value_kind:     global_buffer
      - .actual_access:  read_only
        .address_space:  global
        .offset:         16
        .size:           8
        .value_kind:     global_buffer
      - .actual_access:  read_only
        .address_space:  global
        .offset:         24
        .size:           8
        .value_kind:     global_buffer
      - .actual_access:  read_only
        .address_space:  global
        .offset:         32
        .size:           8
        .value_kind:     global_buffer
      - .actual_access:  read_only
        .address_space:  global
        .offset:         40
        .size:           8
        .value_kind:     global_buffer
      - .actual_access:  read_only
        .address_space:  global
        .offset:         48
        .size:           8
        .value_kind:     global_buffer
      - .actual_access:  read_only
        .address_space:  global
        .offset:         56
        .size:           8
        .value_kind:     global_buffer
      - .actual_access:  read_only
        .address_space:  global
        .offset:         64
        .size:           8
        .value_kind:     global_buffer
      - .actual_access:  write_only
        .address_space:  global
        .offset:         72
        .size:           8
        .value_kind:     global_buffer
      - .offset:         80
        .size:           4
        .value_kind:     by_value
      - .offset:         84
        .size:           4
        .value_kind:     by_value
      - .offset:         88
        .size:           4
        .value_kind:     by_value
      - .offset:         92
        .size:           1
        .value_kind:     by_value
      - .offset:         93
        .size:           1
        .value_kind:     by_value
    .group_segment_fixed_size: 4096
    .kernarg_segment_align: 8
    .kernarg_segment_size: 96
    .language:       OpenCL C
    .language_version:
      - 2
      - 0
    .max_flat_workgroup_size: 128
    .name:           _ZN9rocsparseL22csrgemm_nnz_wf_per_rowILj128ELj4ELj32ELj79EiiEEvT4_PKS1_S3_PKT3_S3_S6_S3_S6_S3_PS4_21rocsparse_index_base_S8_S8_bb
    .private_segment_fixed_size: 0
    .sgpr_count:     46
    .sgpr_spill_count: 0
    .symbol:         _ZN9rocsparseL22csrgemm_nnz_wf_per_rowILj128ELj4ELj32ELj79EiiEEvT4_PKS1_S3_PKT3_S3_S6_S3_S6_S3_PS4_21rocsparse_index_base_S8_S8_bb.kd
    .uniform_work_group_size: 1
    .uses_dynamic_stack: false
    .vgpr_count:     16
    .vgpr_spill_count: 0
    .wavefront_size: 64
  - .agpr_count:     0
    .args:
      - .offset:         0
        .size:           4
        .value_kind:     by_value
      - .actual_access:  read_only
        .address_space:  global
        .offset:         8
        .size:           8
        .value_kind:     global_buffer
      - .actual_access:  read_only
        .address_space:  global
        .offset:         16
        .size:           8
        .value_kind:     global_buffer
      - .actual_access:  read_only
        .address_space:  global
        .offset:         24
        .size:           8
        .value_kind:     global_buffer
      - .actual_access:  read_only
        .address_space:  global
        .offset:         32
        .size:           8
        .value_kind:     global_buffer
      - .actual_access:  read_only
        .address_space:  global
        .offset:         40
        .size:           8
        .value_kind:     global_buffer
      - .actual_access:  read_only
        .address_space:  global
        .offset:         48
        .size:           8
        .value_kind:     global_buffer
      - .actual_access:  read_only
        .address_space:  global
        .offset:         56
        .size:           8
        .value_kind:     global_buffer
      - .actual_access:  read_only
        .address_space:  global
        .offset:         64
        .size:           8
        .value_kind:     global_buffer
      - .actual_access:  write_only
        .address_space:  global
        .offset:         72
        .size:           8
        .value_kind:     global_buffer
      - .offset:         80
        .size:           4
        .value_kind:     by_value
      - .offset:         84
        .size:           4
        .value_kind:     by_value
      - .offset:         88
        .size:           4
        .value_kind:     by_value
      - .offset:         92
        .size:           1
        .value_kind:     by_value
      - .offset:         93
        .size:           1
        .value_kind:     by_value
    .group_segment_fixed_size: 8192
    .kernarg_segment_align: 8
    .kernarg_segment_size: 96
    .language:       OpenCL C
    .language_version:
      - 2
      - 0
    .max_flat_workgroup_size: 256
    .name:           _ZN9rocsparseL22csrgemm_nnz_wf_per_rowILj256ELj8ELj64ELj79EiiEEvT4_PKS1_S3_PKT3_S3_S6_S3_S6_S3_PS4_21rocsparse_index_base_S8_S8_bb
    .private_segment_fixed_size: 0
    .sgpr_count:     46
    .sgpr_spill_count: 0
    .symbol:         _ZN9rocsparseL22csrgemm_nnz_wf_per_rowILj256ELj8ELj64ELj79EiiEEvT4_PKS1_S3_PKT3_S3_S6_S3_S6_S3_PS4_21rocsparse_index_base_S8_S8_bb.kd
    .uniform_work_group_size: 1
    .uses_dynamic_stack: false
    .vgpr_count:     16
    .vgpr_spill_count: 0
    .wavefront_size: 64
  - .agpr_count:     0
    .args:
      - .actual_access:  read_only
        .address_space:  global
        .offset:         0
        .size:           8
        .value_kind:     global_buffer
      - .actual_access:  read_only
        .address_space:  global
        .offset:         8
        .size:           8
        .value_kind:     global_buffer
      - .actual_access:  read_only
        .address_space:  global
        .offset:         16
        .size:           8
        .value_kind:     global_buffer
      - .actual_access:  read_only
        .address_space:  global
        .offset:         24
        .size:           8
        .value_kind:     global_buffer
      - .actual_access:  read_only
        .address_space:  global
        .offset:         32
        .size:           8
        .value_kind:     global_buffer
      - .actual_access:  read_only
        .address_space:  global
        .offset:         40
        .size:           8
        .value_kind:     global_buffer
      - .actual_access:  read_only
        .address_space:  global
        .offset:         48
        .size:           8
        .value_kind:     global_buffer
      - .actual_access:  read_only
        .address_space:  global
        .offset:         56
        .size:           8
        .value_kind:     global_buffer
      - .actual_access:  write_only
        .address_space:  global
        .offset:         64
        .size:           8
        .value_kind:     global_buffer
      - .offset:         72
        .size:           4
        .value_kind:     by_value
      - .offset:         76
        .size:           4
        .value_kind:     by_value
      - .offset:         80
        .size:           4
        .value_kind:     by_value
      - .offset:         84
        .size:           1
        .value_kind:     by_value
      - .offset:         85
        .size:           1
        .value_kind:     by_value
    .group_segment_fixed_size: 0
    .kernarg_segment_align: 8
    .kernarg_segment_size: 88
    .language:       OpenCL C
    .language_version:
      - 2
      - 0
    .max_flat_workgroup_size: 128
    .name:           _ZN9rocsparseL25csrgemm_nnz_block_per_rowILj128ELj8ELj512ELj79EiiEEvPKT4_S3_PKT3_S3_S6_S3_S6_S3_PS4_21rocsparse_index_base_S8_S8_bb
    .private_segment_fixed_size: 0
    .sgpr_count:     54
    .sgpr_spill_count: 0
    .symbol:         _ZN9rocsparseL25csrgemm_nnz_block_per_rowILj128ELj8ELj512ELj79EiiEEvPKT4_S3_PKT3_S3_S6_S3_S6_S3_PS4_21rocsparse_index_base_S8_S8_bb.kd
    .uniform_work_group_size: 1
    .uses_dynamic_stack: false
    .vgpr_count:     16
    .vgpr_spill_count: 0
    .wavefront_size: 64
  - .agpr_count:     0
    .args:
      - .actual_access:  read_only
        .address_space:  global
        .offset:         0
        .size:           8
        .value_kind:     global_buffer
      - .actual_access:  read_only
        .address_space:  global
        .offset:         8
        .size:           8
        .value_kind:     global_buffer
      - .actual_access:  read_only
        .address_space:  global
        .offset:         16
        .size:           8
        .value_kind:     global_buffer
      - .actual_access:  read_only
        .address_space:  global
        .offset:         24
        .size:           8
        .value_kind:     global_buffer
      - .actual_access:  read_only
        .address_space:  global
        .offset:         32
        .size:           8
        .value_kind:     global_buffer
      - .actual_access:  read_only
        .address_space:  global
        .offset:         40
        .size:           8
        .value_kind:     global_buffer
      - .actual_access:  read_only
        .address_space:  global
        .offset:         48
        .size:           8
        .value_kind:     global_buffer
      - .actual_access:  read_only
        .address_space:  global
        .offset:         56
        .size:           8
        .value_kind:     global_buffer
      - .actual_access:  write_only
        .address_space:  global
        .offset:         64
        .size:           8
        .value_kind:     global_buffer
      - .offset:         72
        .size:           4
        .value_kind:     by_value
      - .offset:         76
        .size:           4
        .value_kind:     by_value
      - .offset:         80
        .size:           4
        .value_kind:     by_value
      - .offset:         84
        .size:           1
        .value_kind:     by_value
      - .offset:         85
        .size:           1
        .value_kind:     by_value
    .group_segment_fixed_size: 0
    .kernarg_segment_align: 8
    .kernarg_segment_size: 88
    .language:       OpenCL C
    .language_version:
      - 2
      - 0
    .max_flat_workgroup_size: 128
    .name:           _ZN9rocsparseL25csrgemm_nnz_block_per_rowILj128ELj8ELj1024ELj79EiiEEvPKT4_S3_PKT3_S3_S6_S3_S6_S3_PS4_21rocsparse_index_base_S8_S8_bb
    .private_segment_fixed_size: 0
    .sgpr_count:     54
    .sgpr_spill_count: 0
    .symbol:         _ZN9rocsparseL25csrgemm_nnz_block_per_rowILj128ELj8ELj1024ELj79EiiEEvPKT4_S3_PKT3_S3_S6_S3_S6_S3_PS4_21rocsparse_index_base_S8_S8_bb.kd
    .uniform_work_group_size: 1
    .uses_dynamic_stack: false
    .vgpr_count:     15
    .vgpr_spill_count: 0
    .wavefront_size: 64
  - .agpr_count:     0
    .args:
      - .actual_access:  read_only
        .address_space:  global
        .offset:         0
        .size:           8
        .value_kind:     global_buffer
      - .actual_access:  read_only
        .address_space:  global
        .offset:         8
        .size:           8
        .value_kind:     global_buffer
      - .actual_access:  read_only
        .address_space:  global
        .offset:         16
        .size:           8
        .value_kind:     global_buffer
      - .actual_access:  read_only
        .address_space:  global
        .offset:         24
        .size:           8
        .value_kind:     global_buffer
      - .actual_access:  read_only
        .address_space:  global
        .offset:         32
        .size:           8
        .value_kind:     global_buffer
      - .actual_access:  read_only
        .address_space:  global
        .offset:         40
        .size:           8
        .value_kind:     global_buffer
      - .actual_access:  read_only
        .address_space:  global
        .offset:         48
        .size:           8
        .value_kind:     global_buffer
      - .actual_access:  read_only
        .address_space:  global
        .offset:         56
        .size:           8
        .value_kind:     global_buffer
      - .actual_access:  write_only
        .address_space:  global
        .offset:         64
        .size:           8
        .value_kind:     global_buffer
      - .offset:         72
        .size:           4
        .value_kind:     by_value
      - .offset:         76
        .size:           4
        .value_kind:     by_value
      - .offset:         80
        .size:           4
        .value_kind:     by_value
      - .offset:         84
        .size:           1
        .value_kind:     by_value
      - .offset:         85
        .size:           1
        .value_kind:     by_value
    .group_segment_fixed_size: 0
    .kernarg_segment_align: 8
    .kernarg_segment_size: 88
    .language:       OpenCL C
    .language_version:
      - 2
      - 0
    .max_flat_workgroup_size: 256
    .name:           _ZN9rocsparseL25csrgemm_nnz_block_per_rowILj256ELj16ELj2048ELj79EiiEEvPKT4_S3_PKT3_S3_S6_S3_S6_S3_PS4_21rocsparse_index_base_S8_S8_bb
    .private_segment_fixed_size: 0
    .sgpr_count:     54
    .sgpr_spill_count: 0
    .symbol:         _ZN9rocsparseL25csrgemm_nnz_block_per_rowILj256ELj16ELj2048ELj79EiiEEvPKT4_S3_PKT3_S3_S6_S3_S6_S3_PS4_21rocsparse_index_base_S8_S8_bb.kd
    .uniform_work_group_size: 1
    .uses_dynamic_stack: false
    .vgpr_count:     15
    .vgpr_spill_count: 0
    .wavefront_size: 64
  - .agpr_count:     0
    .args:
      - .actual_access:  read_only
        .address_space:  global
        .offset:         0
        .size:           8
        .value_kind:     global_buffer
      - .actual_access:  read_only
        .address_space:  global
        .offset:         8
        .size:           8
        .value_kind:     global_buffer
      - .actual_access:  read_only
        .address_space:  global
        .offset:         16
        .size:           8
        .value_kind:     global_buffer
      - .actual_access:  read_only
        .address_space:  global
        .offset:         24
        .size:           8
        .value_kind:     global_buffer
      - .actual_access:  read_only
        .address_space:  global
        .offset:         32
        .size:           8
        .value_kind:     global_buffer
      - .actual_access:  read_only
        .address_space:  global
        .offset:         40
        .size:           8
        .value_kind:     global_buffer
      - .actual_access:  read_only
        .address_space:  global
        .offset:         48
        .size:           8
        .value_kind:     global_buffer
      - .actual_access:  read_only
        .address_space:  global
        .offset:         56
        .size:           8
        .value_kind:     global_buffer
      - .actual_access:  write_only
        .address_space:  global
        .offset:         64
        .size:           8
        .value_kind:     global_buffer
      - .offset:         72
        .size:           4
        .value_kind:     by_value
      - .offset:         76
        .size:           4
        .value_kind:     by_value
      - .offset:         80
        .size:           4
        .value_kind:     by_value
      - .offset:         84
        .size:           1
        .value_kind:     by_value
      - .offset:         85
        .size:           1
        .value_kind:     by_value
    .group_segment_fixed_size: 0
    .kernarg_segment_align: 8
    .kernarg_segment_size: 88
    .language:       OpenCL C
    .language_version:
      - 2
      - 0
    .max_flat_workgroup_size: 512
    .name:           _ZN9rocsparseL25csrgemm_nnz_block_per_rowILj512ELj16ELj4096ELj79EiiEEvPKT4_S3_PKT3_S3_S6_S3_S6_S3_PS4_21rocsparse_index_base_S8_S8_bb
    .private_segment_fixed_size: 0
    .sgpr_count:     48
    .sgpr_spill_count: 0
    .symbol:         _ZN9rocsparseL25csrgemm_nnz_block_per_rowILj512ELj16ELj4096ELj79EiiEEvPKT4_S3_PKT3_S3_S6_S3_S6_S3_PS4_21rocsparse_index_base_S8_S8_bb.kd
    .uniform_work_group_size: 1
    .uses_dynamic_stack: false
    .vgpr_count:     16
    .vgpr_spill_count: 0
    .wavefront_size: 64
  - .agpr_count:     0
    .args:
      - .actual_access:  read_only
        .address_space:  global
        .offset:         0
        .size:           8
        .value_kind:     global_buffer
      - .actual_access:  read_only
        .address_space:  global
        .offset:         8
        .size:           8
        .value_kind:     global_buffer
      - .actual_access:  read_only
        .address_space:  global
        .offset:         16
        .size:           8
        .value_kind:     global_buffer
      - .actual_access:  read_only
        .address_space:  global
        .offset:         24
        .size:           8
        .value_kind:     global_buffer
      - .actual_access:  read_only
        .address_space:  global
        .offset:         32
        .size:           8
        .value_kind:     global_buffer
      - .actual_access:  read_only
        .address_space:  global
        .offset:         40
        .size:           8
        .value_kind:     global_buffer
      - .actual_access:  read_only
        .address_space:  global
        .offset:         48
        .size:           8
        .value_kind:     global_buffer
      - .actual_access:  read_only
        .address_space:  global
        .offset:         56
        .size:           8
        .value_kind:     global_buffer
      - .actual_access:  write_only
        .address_space:  global
        .offset:         64
        .size:           8
        .value_kind:     global_buffer
      - .offset:         72
        .size:           4
        .value_kind:     by_value
      - .offset:         76
        .size:           4
        .value_kind:     by_value
      - .offset:         80
        .size:           4
        .value_kind:     by_value
      - .offset:         84
        .size:           1
        .value_kind:     by_value
      - .offset:         85
        .size:           1
        .value_kind:     by_value
    .group_segment_fixed_size: 0
    .kernarg_segment_align: 8
    .kernarg_segment_size: 88
    .language:       OpenCL C
    .language_version:
      - 2
      - 0
    .max_flat_workgroup_size: 1024
    .name:           _ZN9rocsparseL25csrgemm_nnz_block_per_rowILj1024ELj32ELj8192ELj79EiiEEvPKT4_S3_PKT3_S3_S6_S3_S6_S3_PS4_21rocsparse_index_base_S8_S8_bb
    .private_segment_fixed_size: 0
    .sgpr_count:     48
    .sgpr_spill_count: 0
    .symbol:         _ZN9rocsparseL25csrgemm_nnz_block_per_rowILj1024ELj32ELj8192ELj79EiiEEvPKT4_S3_PKT3_S3_S6_S3_S6_S3_PS4_21rocsparse_index_base_S8_S8_bb.kd
    .uniform_work_group_size: 1
    .uses_dynamic_stack: false
    .vgpr_count:     16
    .vgpr_spill_count: 0
    .wavefront_size: 64
  - .agpr_count:     0
    .args:
      - .actual_access:  read_only
        .address_space:  global
        .offset:         0
        .size:           8
        .value_kind:     global_buffer
      - .actual_access:  read_only
        .address_space:  global
        .offset:         8
        .size:           8
        .value_kind:     global_buffer
      - .actual_access:  read_only
        .address_space:  global
        .offset:         16
        .size:           8
        .value_kind:     global_buffer
      - .actual_access:  read_only
        .address_space:  global
        .offset:         24
        .size:           8
        .value_kind:     global_buffer
      - .actual_access:  read_only
        .address_space:  global
        .offset:         32
        .size:           8
        .value_kind:     global_buffer
      - .actual_access:  read_only
        .address_space:  global
        .offset:         40
        .size:           8
        .value_kind:     global_buffer
      - .actual_access:  read_only
        .address_space:  global
        .offset:         48
        .size:           8
        .value_kind:     global_buffer
      - .actual_access:  read_only
        .address_space:  global
        .offset:         56
        .size:           8
        .value_kind:     global_buffer
      - .actual_access:  write_only
        .address_space:  global
        .offset:         64
        .size:           8
        .value_kind:     global_buffer
      - .offset:         72
        .size:           4
        .value_kind:     by_value
      - .offset:         76
        .size:           4
        .value_kind:     by_value
      - .offset:         80
        .size:           4
        .value_kind:     by_value
      - .offset:         84
        .size:           1
        .value_kind:     by_value
      - .offset:         85
        .size:           1
        .value_kind:     by_value
    .group_segment_fixed_size: 0
    .kernarg_segment_align: 8
    .kernarg_segment_size: 88
    .language:       OpenCL C
    .language_version:
      - 2
      - 0
    .max_flat_workgroup_size: 1024
    .name:           _ZN9rocsparseL25csrgemm_nnz_block_per_rowILj1024ELj32ELj16384ELj79EiiEEvPKT4_S3_PKT3_S3_S6_S3_S6_S3_PS4_21rocsparse_index_base_S8_S8_bb
    .private_segment_fixed_size: 0
    .sgpr_count:     54
    .sgpr_spill_count: 0
    .symbol:         _ZN9rocsparseL25csrgemm_nnz_block_per_rowILj1024ELj32ELj16384ELj79EiiEEvPKT4_S3_PKT3_S3_S6_S3_S6_S3_PS4_21rocsparse_index_base_S8_S8_bb.kd
    .uniform_work_group_size: 1
    .uses_dynamic_stack: false
    .vgpr_count:     15
    .vgpr_spill_count: 0
    .wavefront_size: 64
  - .agpr_count:     0
    .args:
      - .actual_access:  read_only
        .address_space:  global
        .offset:         0
        .size:           8
        .value_kind:     global_buffer
      - .actual_access:  read_only
        .address_space:  global
        .offset:         8
        .size:           8
        .value_kind:     global_buffer
      - .actual_access:  read_only
        .address_space:  global
        .offset:         16
        .size:           8
        .value_kind:     global_buffer
      - .actual_access:  read_only
        .address_space:  global
        .offset:         24
        .size:           8
        .value_kind:     global_buffer
      - .actual_access:  read_only
        .address_space:  global
        .offset:         32
        .size:           8
        .value_kind:     global_buffer
      - .actual_access:  read_only
        .address_space:  global
        .offset:         40
        .size:           8
        .value_kind:     global_buffer
      - .actual_access:  read_only
        .address_space:  global
        .offset:         48
        .size:           8
        .value_kind:     global_buffer
      - .actual_access:  read_only
        .address_space:  global
        .offset:         56
        .size:           8
        .value_kind:     global_buffer
      - .actual_access:  write_only
        .address_space:  global
        .offset:         64
        .size:           8
        .value_kind:     global_buffer
      - .offset:         72
        .size:           4
        .value_kind:     by_value
      - .offset:         76
        .size:           4
        .value_kind:     by_value
      - .offset:         80
        .size:           4
        .value_kind:     by_value
      - .offset:         84
        .size:           1
        .value_kind:     by_value
      - .offset:         85
        .size:           1
        .value_kind:     by_value
    .group_segment_fixed_size: 0
    .kernarg_segment_align: 8
    .kernarg_segment_size: 88
    .language:       OpenCL C
    .language_version:
      - 2
      - 0
    .max_flat_workgroup_size: 1024
    .name:           _ZN9rocsparseL25csrgemm_nnz_block_per_rowILj1024ELj32ELj32768ELj79EiiEEvPKT4_S3_PKT3_S3_S6_S3_S6_S3_PS4_21rocsparse_index_base_S8_S8_bb
    .private_segment_fixed_size: 0
    .sgpr_count:     54
    .sgpr_spill_count: 0
    .symbol:         _ZN9rocsparseL25csrgemm_nnz_block_per_rowILj1024ELj32ELj32768ELj79EiiEEvPKT4_S3_PKT3_S3_S6_S3_S6_S3_PS4_21rocsparse_index_base_S8_S8_bb.kd
    .uniform_work_group_size: 1
    .uses_dynamic_stack: false
    .vgpr_count:     15
    .vgpr_spill_count: 0
    .wavefront_size: 64
  - .agpr_count:     0
    .args:
      - .actual_access:  read_only
        .address_space:  global
        .offset:         0
        .size:           8
        .value_kind:     global_buffer
      - .actual_access:  read_only
        .address_space:  global
        .offset:         8
        .size:           8
        .value_kind:     global_buffer
      - .actual_access:  read_only
        .address_space:  global
        .offset:         16
        .size:           8
        .value_kind:     global_buffer
      - .actual_access:  read_only
        .address_space:  global
        .offset:         24
        .size:           8
        .value_kind:     global_buffer
      - .actual_access:  read_only
        .address_space:  global
        .offset:         32
        .size:           8
        .value_kind:     global_buffer
      - .actual_access:  read_only
        .address_space:  global
        .offset:         40
        .size:           8
        .value_kind:     global_buffer
      - .actual_access:  read_only
        .address_space:  global
        .offset:         48
        .size:           8
        .value_kind:     global_buffer
      - .actual_access:  read_only
        .address_space:  global
        .offset:         56
        .size:           8
        .value_kind:     global_buffer
      - .actual_access:  write_only
        .address_space:  global
        .offset:         64
        .size:           8
        .value_kind:     global_buffer
      - .offset:         72
        .size:           4
        .value_kind:     by_value
      - .offset:         76
        .size:           4
        .value_kind:     by_value
      - .offset:         80
        .size:           4
        .value_kind:     by_value
      - .offset:         84
        .size:           1
        .value_kind:     by_value
      - .offset:         85
        .size:           1
        .value_kind:     by_value
    .group_segment_fixed_size: 0
    .kernarg_segment_align: 8
    .kernarg_segment_size: 88
    .language:       OpenCL C
    .language_version:
      - 2
      - 0
    .max_flat_workgroup_size: 1024
    .name:           _ZN9rocsparseL25csrgemm_nnz_block_per_rowILj1024ELj32ELj65536ELj79EiiEEvPKT4_S3_PKT3_S3_S6_S3_S6_S3_PS4_21rocsparse_index_base_S8_S8_bb
    .private_segment_fixed_size: 0
    .sgpr_count:     54
    .sgpr_spill_count: 0
    .symbol:         _ZN9rocsparseL25csrgemm_nnz_block_per_rowILj1024ELj32ELj65536ELj79EiiEEvPKT4_S3_PKT3_S3_S6_S3_S6_S3_PS4_21rocsparse_index_base_S8_S8_bb.kd
    .uniform_work_group_size: 1
    .uses_dynamic_stack: false
    .vgpr_count:     15
    .vgpr_spill_count: 0
    .wavefront_size: 64
  - .agpr_count:     0
    .args:
      - .offset:         0
        .size:           4
        .value_kind:     by_value
      - .actual_access:  read_only
        .address_space:  global
        .offset:         8
        .size:           8
        .value_kind:     global_buffer
      - .actual_access:  read_only
        .address_space:  global
        .offset:         16
        .size:           8
        .value_kind:     global_buffer
      - .actual_access:  read_only
        .address_space:  global
        .offset:         24
        .size:           8
        .value_kind:     global_buffer
      - .actual_access:  read_only
        .address_space:  global
        .offset:         32
        .size:           8
        .value_kind:     global_buffer
      - .actual_access:  read_only
        .address_space:  global
        .offset:         40
        .size:           8
        .value_kind:     global_buffer
      - .actual_access:  read_only
        .address_space:  global
        .offset:         48
        .size:           8
        .value_kind:     global_buffer
      - .actual_access:  read_only
        .address_space:  global
        .offset:         56
        .size:           8
        .value_kind:     global_buffer
      - .actual_access:  read_only
        .address_space:  global
        .offset:         64
        .size:           8
        .value_kind:     global_buffer
      - .actual_access:  write_only
        .address_space:  global
        .offset:         72
        .size:           8
        .value_kind:     global_buffer
      - .address_space:  global
        .offset:         80
        .size:           8
        .value_kind:     global_buffer
      - .offset:         88
        .size:           4
        .value_kind:     by_value
      - .offset:         92
        .size:           4
        .value_kind:     by_value
      - .offset:         96
        .size:           4
        .value_kind:     by_value
      - .offset:         100
        .size:           1
        .value_kind:     by_value
      - .offset:         101
        .size:           1
        .value_kind:     by_value
    .group_segment_fixed_size: 2056
    .kernarg_segment_align: 8
    .kernarg_segment_size: 104
    .language:       OpenCL C
    .language_version:
      - 2
      - 0
    .max_flat_workgroup_size: 512
    .name:           _ZN9rocsparseL35csrgemm_nnz_block_per_row_multipassILj512ELj16ELj2048EiiEEvT3_PKS1_S3_PKT2_S3_S6_S3_S6_S3_PS4_S7_21rocsparse_index_base_S8_S8_bb
    .private_segment_fixed_size: 0
    .sgpr_count:     60
    .sgpr_spill_count: 0
    .symbol:         _ZN9rocsparseL35csrgemm_nnz_block_per_row_multipassILj512ELj16ELj2048EiiEEvT3_PKS1_S3_PKT2_S3_S6_S3_S6_S3_PS4_S7_21rocsparse_index_base_S8_S8_bb.kd
    .uniform_work_group_size: 1
    .uses_dynamic_stack: false
    .vgpr_count:     20
    .vgpr_spill_count: 0
    .wavefront_size: 64
  - .agpr_count:     0
    .args:
      - .address_space:  global
        .offset:         0
        .size:           8
        .value_kind:     global_buffer
    .group_segment_fixed_size: 0
    .kernarg_segment_align: 8
    .kernarg_segment_size: 8
    .language:       OpenCL C
    .language_version:
      - 2
      - 0
    .max_flat_workgroup_size: 1
    .name:           _ZN9rocsparseL18csrgemm_index_baseILj1EiEEvPT0_
    .private_segment_fixed_size: 0
    .sgpr_count:     10
    .sgpr_spill_count: 0
    .symbol:         _ZN9rocsparseL18csrgemm_index_baseILj1EiEEvPT0_.kd
    .uniform_work_group_size: 1
    .uses_dynamic_stack: false
    .vgpr_count:     2
    .vgpr_spill_count: 0
    .wavefront_size: 64
  - .agpr_count:     0
    .args:
      - .offset:         0
        .size:           8
        .value_kind:     by_value
      - .actual_access:  read_only
        .address_space:  global
        .offset:         8
        .size:           8
        .value_kind:     global_buffer
      - .actual_access:  read_only
        .address_space:  global
        .offset:         16
        .size:           8
        .value_kind:     global_buffer
      - .actual_access:  read_only
        .address_space:  global
        .offset:         24
        .size:           8
        .value_kind:     global_buffer
      - .actual_access:  read_only
        .address_space:  global
        .offset:         32
        .size:           8
        .value_kind:     global_buffer
      - .actual_access:  write_only
        .address_space:  global
        .offset:         40
        .size:           8
        .value_kind:     global_buffer
      - .offset:         48
        .size:           4
        .value_kind:     by_value
      - .offset:         52
        .size:           1
        .value_kind:     by_value
      - .offset:         53
        .size:           1
        .value_kind:     by_value
    .group_segment_fixed_size: 0
    .kernarg_segment_align: 8
    .kernarg_segment_size: 56
    .language:       OpenCL C
    .language_version:
      - 2
      - 0
    .max_flat_workgroup_size: 256
    .name:           _ZN9rocsparseL29csrgemm_intermediate_productsILj256ELj8EilEEvT2_PKT1_PKS1_S4_S4_PS2_21rocsparse_index_base_bb
    .private_segment_fixed_size: 0
    .sgpr_count:     20
    .sgpr_spill_count: 0
    .symbol:         _ZN9rocsparseL29csrgemm_intermediate_productsILj256ELj8EilEEvT2_PKT1_PKS1_S4_S4_PS2_21rocsparse_index_base_bb.kd
    .uniform_work_group_size: 1
    .uses_dynamic_stack: false
    .vgpr_count:     12
    .vgpr_spill_count: 0
    .wavefront_size: 64
  - .agpr_count:     0
    .args:
      - .offset:         0
        .size:           8
        .value_kind:     by_value
      - .address_space:  global
        .offset:         8
        .size:           8
        .value_kind:     global_buffer
      - .actual_access:  write_only
        .address_space:  global
        .offset:         16
        .size:           8
        .value_kind:     global_buffer
      - .offset:         24
        .size:           4
        .value_kind:     by_value
      - .offset:         32
        .size:           4
        .value_kind:     hidden_block_count_x
      - .offset:         36
        .size:           4
        .value_kind:     hidden_block_count_y
      - .offset:         40
        .size:           4
        .value_kind:     hidden_block_count_z
      - .offset:         44
        .size:           2
        .value_kind:     hidden_group_size_x
      - .offset:         46
        .size:           2
        .value_kind:     hidden_group_size_y
      - .offset:         48
        .size:           2
        .value_kind:     hidden_group_size_z
      - .offset:         50
        .size:           2
        .value_kind:     hidden_remainder_x
      - .offset:         52
        .size:           2
        .value_kind:     hidden_remainder_y
      - .offset:         54
        .size:           2
        .value_kind:     hidden_remainder_z
      - .offset:         72
        .size:           8
        .value_kind:     hidden_global_offset_x
      - .offset:         80
        .size:           8
        .value_kind:     hidden_global_offset_y
      - .offset:         88
        .size:           8
        .value_kind:     hidden_global_offset_z
      - .offset:         96
        .size:           2
        .value_kind:     hidden_grid_dims
    .group_segment_fixed_size: 22528
    .kernarg_segment_align: 8
    .kernarg_segment_size: 288
    .language:       OpenCL C
    .language_version:
      - 2
      - 0
    .max_flat_workgroup_size: 256
    .name:           _ZN9rocsparseL26csrgemm_group_reduce_part1ILj256ELj11EilEEvT2_PT1_PS1_j
    .private_segment_fixed_size: 0
    .sgpr_count:     52
    .sgpr_spill_count: 0
    .symbol:         _ZN9rocsparseL26csrgemm_group_reduce_part1ILj256ELj11EilEEvT2_PT1_PS1_j.kd
    .uniform_work_group_size: 1
    .uses_dynamic_stack: false
    .vgpr_count:     34
    .vgpr_spill_count: 0
    .wavefront_size: 64
  - .agpr_count:     0
    .args:
      - .address_space:  global
        .offset:         0
        .size:           8
        .value_kind:     global_buffer
    .group_segment_fixed_size: 22528
    .kernarg_segment_align: 8
    .kernarg_segment_size: 8
    .language:       OpenCL C
    .language_version:
      - 2
      - 0
    .max_flat_workgroup_size: 256
    .name:           _ZN9rocsparseL26csrgemm_group_reduce_part3ILj256ELj11ElEEvPT1_
    .private_segment_fixed_size: 0
    .sgpr_count:     10
    .sgpr_spill_count: 0
    .symbol:         _ZN9rocsparseL26csrgemm_group_reduce_part3ILj256ELj11ElEEvPT1_.kd
    .uniform_work_group_size: 1
    .uses_dynamic_stack: false
    .vgpr_count:     34
    .vgpr_spill_count: 0
    .wavefront_size: 64
  - .agpr_count:     0
    .args:
      - .offset:         0
        .size:           8
        .value_kind:     by_value
      - .actual_access:  read_only
        .address_space:  global
        .offset:         8
        .size:           8
        .value_kind:     global_buffer
      - .actual_access:  read_only
        .address_space:  global
        .offset:         16
        .size:           8
        .value_kind:     global_buffer
      - .actual_access:  read_only
        .address_space:  global
        .offset:         24
        .size:           8
        .value_kind:     global_buffer
      - .actual_access:  read_only
        .address_space:  global
        .offset:         32
        .size:           8
        .value_kind:     global_buffer
      - .actual_access:  read_only
        .address_space:  global
        .offset:         40
        .size:           8
        .value_kind:     global_buffer
      - .actual_access:  read_only
        .address_space:  global
        .offset:         48
        .size:           8
        .value_kind:     global_buffer
      - .actual_access:  read_only
        .address_space:  global
        .offset:         56
        .size:           8
        .value_kind:     global_buffer
      - .actual_access:  read_only
        .address_space:  global
        .offset:         64
        .size:           8
        .value_kind:     global_buffer
      - .actual_access:  write_only
        .address_space:  global
        .offset:         72
        .size:           8
        .value_kind:     global_buffer
      - .offset:         80
        .size:           4
        .value_kind:     by_value
      - .offset:         84
        .size:           4
        .value_kind:     by_value
      - .offset:         88
        .size:           4
        .value_kind:     by_value
      - .offset:         92
        .size:           1
        .value_kind:     by_value
      - .offset:         93
        .size:           1
        .value_kind:     by_value
    .group_segment_fixed_size: 8192
    .kernarg_segment_align: 8
    .kernarg_segment_size: 96
    .language:       OpenCL C
    .language_version:
      - 2
      - 0
    .max_flat_workgroup_size: 128
    .name:           _ZN9rocsparseL22csrgemm_nnz_wf_per_rowILj128ELj4ELj32ELj79EilEEvT4_PKS1_S3_PKT3_S3_S6_S3_S6_S3_PS4_21rocsparse_index_base_S8_S8_bb
    .private_segment_fixed_size: 0
    .sgpr_count:     52
    .sgpr_spill_count: 0
    .symbol:         _ZN9rocsparseL22csrgemm_nnz_wf_per_rowILj128ELj4ELj32ELj79EilEEvT4_PKS1_S3_PKT3_S3_S6_S3_S6_S3_PS4_21rocsparse_index_base_S8_S8_bb.kd
    .uniform_work_group_size: 1
    .uses_dynamic_stack: false
    .vgpr_count:     19
    .vgpr_spill_count: 0
    .wavefront_size: 64
  - .agpr_count:     0
    .args:
      - .offset:         0
        .size:           8
        .value_kind:     by_value
      - .actual_access:  read_only
        .address_space:  global
        .offset:         8
        .size:           8
        .value_kind:     global_buffer
      - .actual_access:  read_only
        .address_space:  global
        .offset:         16
        .size:           8
        .value_kind:     global_buffer
      - .actual_access:  read_only
        .address_space:  global
        .offset:         24
        .size:           8
        .value_kind:     global_buffer
      - .actual_access:  read_only
        .address_space:  global
        .offset:         32
        .size:           8
        .value_kind:     global_buffer
      - .actual_access:  read_only
        .address_space:  global
        .offset:         40
        .size:           8
        .value_kind:     global_buffer
      - .actual_access:  read_only
        .address_space:  global
        .offset:         48
        .size:           8
        .value_kind:     global_buffer
      - .actual_access:  read_only
        .address_space:  global
        .offset:         56
        .size:           8
        .value_kind:     global_buffer
      - .actual_access:  read_only
        .address_space:  global
        .offset:         64
        .size:           8
        .value_kind:     global_buffer
      - .actual_access:  write_only
        .address_space:  global
        .offset:         72
        .size:           8
        .value_kind:     global_buffer
      - .offset:         80
        .size:           4
        .value_kind:     by_value
      - .offset:         84
        .size:           4
        .value_kind:     by_value
      - .offset:         88
        .size:           4
        .value_kind:     by_value
      - .offset:         92
        .size:           1
        .value_kind:     by_value
      - .offset:         93
        .size:           1
        .value_kind:     by_value
    .group_segment_fixed_size: 16384
    .kernarg_segment_align: 8
    .kernarg_segment_size: 96
    .language:       OpenCL C
    .language_version:
      - 2
      - 0
    .max_flat_workgroup_size: 256
    .name:           _ZN9rocsparseL22csrgemm_nnz_wf_per_rowILj256ELj8ELj64ELj79EilEEvT4_PKS1_S3_PKT3_S3_S6_S3_S6_S3_PS4_21rocsparse_index_base_S8_S8_bb
    .private_segment_fixed_size: 0
    .sgpr_count:     52
    .sgpr_spill_count: 0
    .symbol:         _ZN9rocsparseL22csrgemm_nnz_wf_per_rowILj256ELj8ELj64ELj79EilEEvT4_PKS1_S3_PKT3_S3_S6_S3_S6_S3_PS4_21rocsparse_index_base_S8_S8_bb.kd
    .uniform_work_group_size: 1
    .uses_dynamic_stack: false
    .vgpr_count:     19
    .vgpr_spill_count: 0
    .wavefront_size: 64
  - .agpr_count:     0
    .args:
      - .actual_access:  read_only
        .address_space:  global
        .offset:         0
        .size:           8
        .value_kind:     global_buffer
      - .actual_access:  read_only
        .address_space:  global
        .offset:         8
        .size:           8
        .value_kind:     global_buffer
      - .actual_access:  read_only
        .address_space:  global
        .offset:         16
        .size:           8
        .value_kind:     global_buffer
      - .actual_access:  read_only
        .address_space:  global
        .offset:         24
        .size:           8
        .value_kind:     global_buffer
      - .actual_access:  read_only
        .address_space:  global
        .offset:         32
        .size:           8
        .value_kind:     global_buffer
      - .actual_access:  read_only
        .address_space:  global
        .offset:         40
        .size:           8
        .value_kind:     global_buffer
      - .actual_access:  read_only
        .address_space:  global
        .offset:         48
        .size:           8
        .value_kind:     global_buffer
      - .actual_access:  read_only
        .address_space:  global
        .offset:         56
        .size:           8
        .value_kind:     global_buffer
      - .actual_access:  write_only
        .address_space:  global
        .offset:         64
        .size:           8
        .value_kind:     global_buffer
      - .offset:         72
        .size:           4
        .value_kind:     by_value
      - .offset:         76
        .size:           4
        .value_kind:     by_value
      - .offset:         80
        .size:           4
        .value_kind:     by_value
      - .offset:         84
        .size:           1
        .value_kind:     by_value
      - .offset:         85
        .size:           1
        .value_kind:     by_value
    .group_segment_fixed_size: 0
    .kernarg_segment_align: 8
    .kernarg_segment_size: 88
    .language:       OpenCL C
    .language_version:
      - 2
      - 0
    .max_flat_workgroup_size: 128
    .name:           _ZN9rocsparseL25csrgemm_nnz_block_per_rowILj128ELj8ELj512ELj79EilEEvPKT4_S3_PKT3_S3_S6_S3_S6_S3_PS4_21rocsparse_index_base_S8_S8_bb
    .private_segment_fixed_size: 0
    .sgpr_count:     56
    .sgpr_spill_count: 0
    .symbol:         _ZN9rocsparseL25csrgemm_nnz_block_per_rowILj128ELj8ELj512ELj79EilEEvPKT4_S3_PKT3_S3_S6_S3_S6_S3_PS4_21rocsparse_index_base_S8_S8_bb.kd
    .uniform_work_group_size: 1
    .uses_dynamic_stack: false
    .vgpr_count:     19
    .vgpr_spill_count: 0
    .wavefront_size: 64
  - .agpr_count:     0
    .args:
      - .actual_access:  read_only
        .address_space:  global
        .offset:         0
        .size:           8
        .value_kind:     global_buffer
      - .actual_access:  read_only
        .address_space:  global
        .offset:         8
        .size:           8
        .value_kind:     global_buffer
      - .actual_access:  read_only
        .address_space:  global
        .offset:         16
        .size:           8
        .value_kind:     global_buffer
      - .actual_access:  read_only
        .address_space:  global
        .offset:         24
        .size:           8
        .value_kind:     global_buffer
      - .actual_access:  read_only
        .address_space:  global
        .offset:         32
        .size:           8
        .value_kind:     global_buffer
      - .actual_access:  read_only
        .address_space:  global
        .offset:         40
        .size:           8
        .value_kind:     global_buffer
      - .actual_access:  read_only
        .address_space:  global
        .offset:         48
        .size:           8
        .value_kind:     global_buffer
      - .actual_access:  read_only
        .address_space:  global
        .offset:         56
        .size:           8
        .value_kind:     global_buffer
      - .actual_access:  write_only
        .address_space:  global
        .offset:         64
        .size:           8
        .value_kind:     global_buffer
      - .offset:         72
        .size:           4
        .value_kind:     by_value
      - .offset:         76
        .size:           4
        .value_kind:     by_value
      - .offset:         80
        .size:           4
        .value_kind:     by_value
      - .offset:         84
        .size:           1
        .value_kind:     by_value
      - .offset:         85
        .size:           1
        .value_kind:     by_value
    .group_segment_fixed_size: 0
    .kernarg_segment_align: 8
    .kernarg_segment_size: 88
    .language:       OpenCL C
    .language_version:
      - 2
      - 0
    .max_flat_workgroup_size: 128
    .name:           _ZN9rocsparseL25csrgemm_nnz_block_per_rowILj128ELj8ELj1024ELj79EilEEvPKT4_S3_PKT3_S3_S6_S3_S6_S3_PS4_21rocsparse_index_base_S8_S8_bb
    .private_segment_fixed_size: 0
    .sgpr_count:     50
    .sgpr_spill_count: 0
    .symbol:         _ZN9rocsparseL25csrgemm_nnz_block_per_rowILj128ELj8ELj1024ELj79EilEEvPKT4_S3_PKT3_S3_S6_S3_S6_S3_PS4_21rocsparse_index_base_S8_S8_bb.kd
    .uniform_work_group_size: 1
    .uses_dynamic_stack: false
    .vgpr_count:     19
    .vgpr_spill_count: 0
    .wavefront_size: 64
  - .agpr_count:     0
    .args:
      - .actual_access:  read_only
        .address_space:  global
        .offset:         0
        .size:           8
        .value_kind:     global_buffer
      - .actual_access:  read_only
        .address_space:  global
        .offset:         8
        .size:           8
        .value_kind:     global_buffer
      - .actual_access:  read_only
        .address_space:  global
        .offset:         16
        .size:           8
        .value_kind:     global_buffer
      - .actual_access:  read_only
        .address_space:  global
        .offset:         24
        .size:           8
        .value_kind:     global_buffer
      - .actual_access:  read_only
        .address_space:  global
        .offset:         32
        .size:           8
        .value_kind:     global_buffer
      - .actual_access:  read_only
        .address_space:  global
        .offset:         40
        .size:           8
        .value_kind:     global_buffer
      - .actual_access:  read_only
        .address_space:  global
        .offset:         48
        .size:           8
        .value_kind:     global_buffer
      - .actual_access:  read_only
        .address_space:  global
        .offset:         56
        .size:           8
        .value_kind:     global_buffer
      - .actual_access:  write_only
        .address_space:  global
        .offset:         64
        .size:           8
        .value_kind:     global_buffer
      - .offset:         72
        .size:           4
        .value_kind:     by_value
      - .offset:         76
        .size:           4
        .value_kind:     by_value
      - .offset:         80
        .size:           4
        .value_kind:     by_value
      - .offset:         84
        .size:           1
        .value_kind:     by_value
      - .offset:         85
        .size:           1
        .value_kind:     by_value
    .group_segment_fixed_size: 0
    .kernarg_segment_align: 8
    .kernarg_segment_size: 88
    .language:       OpenCL C
    .language_version:
      - 2
      - 0
    .max_flat_workgroup_size: 256
    .name:           _ZN9rocsparseL25csrgemm_nnz_block_per_rowILj256ELj16ELj2048ELj79EilEEvPKT4_S3_PKT3_S3_S6_S3_S6_S3_PS4_21rocsparse_index_base_S8_S8_bb
    .private_segment_fixed_size: 0
    .sgpr_count:     50
    .sgpr_spill_count: 0
    .symbol:         _ZN9rocsparseL25csrgemm_nnz_block_per_rowILj256ELj16ELj2048ELj79EilEEvPKT4_S3_PKT3_S3_S6_S3_S6_S3_PS4_21rocsparse_index_base_S8_S8_bb.kd
    .uniform_work_group_size: 1
    .uses_dynamic_stack: false
    .vgpr_count:     19
    .vgpr_spill_count: 0
    .wavefront_size: 64
  - .agpr_count:     0
    .args:
      - .actual_access:  read_only
        .address_space:  global
        .offset:         0
        .size:           8
        .value_kind:     global_buffer
      - .actual_access:  read_only
        .address_space:  global
        .offset:         8
        .size:           8
        .value_kind:     global_buffer
      - .actual_access:  read_only
        .address_space:  global
        .offset:         16
        .size:           8
        .value_kind:     global_buffer
      - .actual_access:  read_only
        .address_space:  global
        .offset:         24
        .size:           8
        .value_kind:     global_buffer
      - .actual_access:  read_only
        .address_space:  global
        .offset:         32
        .size:           8
        .value_kind:     global_buffer
      - .actual_access:  read_only
        .address_space:  global
        .offset:         40
        .size:           8
        .value_kind:     global_buffer
      - .actual_access:  read_only
        .address_space:  global
        .offset:         48
        .size:           8
        .value_kind:     global_buffer
      - .actual_access:  read_only
        .address_space:  global
        .offset:         56
        .size:           8
        .value_kind:     global_buffer
      - .actual_access:  write_only
        .address_space:  global
        .offset:         64
        .size:           8
        .value_kind:     global_buffer
      - .offset:         72
        .size:           4
        .value_kind:     by_value
      - .offset:         76
        .size:           4
        .value_kind:     by_value
      - .offset:         80
        .size:           4
        .value_kind:     by_value
      - .offset:         84
        .size:           1
        .value_kind:     by_value
      - .offset:         85
        .size:           1
        .value_kind:     by_value
    .group_segment_fixed_size: 0
    .kernarg_segment_align: 8
    .kernarg_segment_size: 88
    .language:       OpenCL C
    .language_version:
      - 2
      - 0
    .max_flat_workgroup_size: 512
    .name:           _ZN9rocsparseL25csrgemm_nnz_block_per_rowILj512ELj16ELj4096ELj79EilEEvPKT4_S3_PKT3_S3_S6_S3_S6_S3_PS4_21rocsparse_index_base_S8_S8_bb
    .private_segment_fixed_size: 0
    .sgpr_count:     50
    .sgpr_spill_count: 0
    .symbol:         _ZN9rocsparseL25csrgemm_nnz_block_per_rowILj512ELj16ELj4096ELj79EilEEvPKT4_S3_PKT3_S3_S6_S3_S6_S3_PS4_21rocsparse_index_base_S8_S8_bb.kd
    .uniform_work_group_size: 1
    .uses_dynamic_stack: false
    .vgpr_count:     19
    .vgpr_spill_count: 0
    .wavefront_size: 64
  - .agpr_count:     0
    .args:
      - .actual_access:  read_only
        .address_space:  global
        .offset:         0
        .size:           8
        .value_kind:     global_buffer
      - .actual_access:  read_only
        .address_space:  global
        .offset:         8
        .size:           8
        .value_kind:     global_buffer
      - .actual_access:  read_only
        .address_space:  global
        .offset:         16
        .size:           8
        .value_kind:     global_buffer
      - .actual_access:  read_only
        .address_space:  global
        .offset:         24
        .size:           8
        .value_kind:     global_buffer
      - .actual_access:  read_only
        .address_space:  global
        .offset:         32
        .size:           8
        .value_kind:     global_buffer
      - .actual_access:  read_only
        .address_space:  global
        .offset:         40
        .size:           8
        .value_kind:     global_buffer
      - .actual_access:  read_only
        .address_space:  global
        .offset:         48
        .size:           8
        .value_kind:     global_buffer
      - .actual_access:  read_only
        .address_space:  global
        .offset:         56
        .size:           8
        .value_kind:     global_buffer
      - .actual_access:  write_only
        .address_space:  global
        .offset:         64
        .size:           8
        .value_kind:     global_buffer
      - .offset:         72
        .size:           4
        .value_kind:     by_value
      - .offset:         76
        .size:           4
        .value_kind:     by_value
      - .offset:         80
        .size:           4
        .value_kind:     by_value
      - .offset:         84
        .size:           1
        .value_kind:     by_value
      - .offset:         85
        .size:           1
        .value_kind:     by_value
    .group_segment_fixed_size: 0
    .kernarg_segment_align: 8
    .kernarg_segment_size: 88
    .language:       OpenCL C
    .language_version:
      - 2
      - 0
    .max_flat_workgroup_size: 1024
    .name:           _ZN9rocsparseL25csrgemm_nnz_block_per_rowILj1024ELj32ELj8192ELj79EilEEvPKT4_S3_PKT3_S3_S6_S3_S6_S3_PS4_21rocsparse_index_base_S8_S8_bb
    .private_segment_fixed_size: 0
    .sgpr_count:     50
    .sgpr_spill_count: 0
    .symbol:         _ZN9rocsparseL25csrgemm_nnz_block_per_rowILj1024ELj32ELj8192ELj79EilEEvPKT4_S3_PKT3_S3_S6_S3_S6_S3_PS4_21rocsparse_index_base_S8_S8_bb.kd
    .uniform_work_group_size: 1
    .uses_dynamic_stack: false
    .vgpr_count:     19
    .vgpr_spill_count: 0
    .wavefront_size: 64
  - .agpr_count:     0
    .args:
      - .actual_access:  read_only
        .address_space:  global
        .offset:         0
        .size:           8
        .value_kind:     global_buffer
      - .actual_access:  read_only
        .address_space:  global
        .offset:         8
        .size:           8
        .value_kind:     global_buffer
      - .actual_access:  read_only
        .address_space:  global
        .offset:         16
        .size:           8
        .value_kind:     global_buffer
      - .actual_access:  read_only
        .address_space:  global
        .offset:         24
        .size:           8
        .value_kind:     global_buffer
      - .actual_access:  read_only
        .address_space:  global
        .offset:         32
        .size:           8
        .value_kind:     global_buffer
      - .actual_access:  read_only
        .address_space:  global
        .offset:         40
        .size:           8
        .value_kind:     global_buffer
      - .actual_access:  read_only
        .address_space:  global
        .offset:         48
        .size:           8
        .value_kind:     global_buffer
      - .actual_access:  read_only
        .address_space:  global
        .offset:         56
        .size:           8
        .value_kind:     global_buffer
      - .actual_access:  write_only
        .address_space:  global
        .offset:         64
        .size:           8
        .value_kind:     global_buffer
      - .offset:         72
        .size:           4
        .value_kind:     by_value
      - .offset:         76
        .size:           4
        .value_kind:     by_value
      - .offset:         80
        .size:           4
        .value_kind:     by_value
      - .offset:         84
        .size:           1
        .value_kind:     by_value
      - .offset:         85
        .size:           1
        .value_kind:     by_value
    .group_segment_fixed_size: 0
    .kernarg_segment_align: 8
    .kernarg_segment_size: 88
    .language:       OpenCL C
    .language_version:
      - 2
      - 0
    .max_flat_workgroup_size: 1024
    .name:           _ZN9rocsparseL25csrgemm_nnz_block_per_rowILj1024ELj32ELj16384ELj79EilEEvPKT4_S3_PKT3_S3_S6_S3_S6_S3_PS4_21rocsparse_index_base_S8_S8_bb
    .private_segment_fixed_size: 0
    .sgpr_count:     56
    .sgpr_spill_count: 0
    .symbol:         _ZN9rocsparseL25csrgemm_nnz_block_per_rowILj1024ELj32ELj16384ELj79EilEEvPKT4_S3_PKT3_S3_S6_S3_S6_S3_PS4_21rocsparse_index_base_S8_S8_bb.kd
    .uniform_work_group_size: 1
    .uses_dynamic_stack: false
    .vgpr_count:     18
    .vgpr_spill_count: 0
    .wavefront_size: 64
  - .agpr_count:     0
    .args:
      - .actual_access:  read_only
        .address_space:  global
        .offset:         0
        .size:           8
        .value_kind:     global_buffer
      - .actual_access:  read_only
        .address_space:  global
        .offset:         8
        .size:           8
        .value_kind:     global_buffer
      - .actual_access:  read_only
        .address_space:  global
        .offset:         16
        .size:           8
        .value_kind:     global_buffer
      - .actual_access:  read_only
        .address_space:  global
        .offset:         24
        .size:           8
        .value_kind:     global_buffer
      - .actual_access:  read_only
        .address_space:  global
        .offset:         32
        .size:           8
        .value_kind:     global_buffer
      - .actual_access:  read_only
        .address_space:  global
        .offset:         40
        .size:           8
        .value_kind:     global_buffer
      - .actual_access:  read_only
        .address_space:  global
        .offset:         48
        .size:           8
        .value_kind:     global_buffer
      - .actual_access:  read_only
        .address_space:  global
        .offset:         56
        .size:           8
        .value_kind:     global_buffer
      - .actual_access:  write_only
        .address_space:  global
        .offset:         64
        .size:           8
        .value_kind:     global_buffer
      - .offset:         72
        .size:           4
        .value_kind:     by_value
      - .offset:         76
        .size:           4
        .value_kind:     by_value
      - .offset:         80
        .size:           4
        .value_kind:     by_value
      - .offset:         84
        .size:           1
        .value_kind:     by_value
      - .offset:         85
        .size:           1
        .value_kind:     by_value
    .group_segment_fixed_size: 0
    .kernarg_segment_align: 8
    .kernarg_segment_size: 88
    .language:       OpenCL C
    .language_version:
      - 2
      - 0
    .max_flat_workgroup_size: 1024
    .name:           _ZN9rocsparseL25csrgemm_nnz_block_per_rowILj1024ELj32ELj32768ELj79EilEEvPKT4_S3_PKT3_S3_S6_S3_S6_S3_PS4_21rocsparse_index_base_S8_S8_bb
    .private_segment_fixed_size: 0
    .sgpr_count:     56
    .sgpr_spill_count: 0
    .symbol:         _ZN9rocsparseL25csrgemm_nnz_block_per_rowILj1024ELj32ELj32768ELj79EilEEvPKT4_S3_PKT3_S3_S6_S3_S6_S3_PS4_21rocsparse_index_base_S8_S8_bb.kd
    .uniform_work_group_size: 1
    .uses_dynamic_stack: false
    .vgpr_count:     18
    .vgpr_spill_count: 0
    .wavefront_size: 64
  - .agpr_count:     0
    .args:
      - .actual_access:  read_only
        .address_space:  global
        .offset:         0
        .size:           8
        .value_kind:     global_buffer
      - .actual_access:  read_only
        .address_space:  global
        .offset:         8
        .size:           8
        .value_kind:     global_buffer
      - .actual_access:  read_only
        .address_space:  global
        .offset:         16
        .size:           8
        .value_kind:     global_buffer
      - .actual_access:  read_only
        .address_space:  global
        .offset:         24
        .size:           8
        .value_kind:     global_buffer
      - .actual_access:  read_only
        .address_space:  global
        .offset:         32
        .size:           8
        .value_kind:     global_buffer
      - .actual_access:  read_only
        .address_space:  global
        .offset:         40
        .size:           8
        .value_kind:     global_buffer
      - .actual_access:  read_only
        .address_space:  global
        .offset:         48
        .size:           8
        .value_kind:     global_buffer
      - .actual_access:  read_only
        .address_space:  global
        .offset:         56
        .size:           8
        .value_kind:     global_buffer
      - .actual_access:  write_only
        .address_space:  global
        .offset:         64
        .size:           8
        .value_kind:     global_buffer
      - .offset:         72
        .size:           4
        .value_kind:     by_value
      - .offset:         76
        .size:           4
        .value_kind:     by_value
      - .offset:         80
        .size:           4
        .value_kind:     by_value
      - .offset:         84
        .size:           1
        .value_kind:     by_value
      - .offset:         85
        .size:           1
        .value_kind:     by_value
    .group_segment_fixed_size: 0
    .kernarg_segment_align: 8
    .kernarg_segment_size: 88
    .language:       OpenCL C
    .language_version:
      - 2
      - 0
    .max_flat_workgroup_size: 1024
    .name:           _ZN9rocsparseL25csrgemm_nnz_block_per_rowILj1024ELj32ELj65536ELj79EilEEvPKT4_S3_PKT3_S3_S6_S3_S6_S3_PS4_21rocsparse_index_base_S8_S8_bb
    .private_segment_fixed_size: 0
    .sgpr_count:     56
    .sgpr_spill_count: 0
    .symbol:         _ZN9rocsparseL25csrgemm_nnz_block_per_rowILj1024ELj32ELj65536ELj79EilEEvPKT4_S3_PKT3_S3_S6_S3_S6_S3_PS4_21rocsparse_index_base_S8_S8_bb.kd
    .uniform_work_group_size: 1
    .uses_dynamic_stack: false
    .vgpr_count:     18
    .vgpr_spill_count: 0
    .wavefront_size: 64
  - .agpr_count:     0
    .args:
      - .offset:         0
        .size:           8
        .value_kind:     by_value
      - .actual_access:  read_only
        .address_space:  global
        .offset:         8
        .size:           8
        .value_kind:     global_buffer
      - .actual_access:  read_only
        .address_space:  global
        .offset:         16
        .size:           8
        .value_kind:     global_buffer
      - .actual_access:  read_only
        .address_space:  global
        .offset:         24
        .size:           8
        .value_kind:     global_buffer
      - .actual_access:  read_only
        .address_space:  global
        .offset:         32
        .size:           8
        .value_kind:     global_buffer
      - .actual_access:  read_only
        .address_space:  global
        .offset:         40
        .size:           8
        .value_kind:     global_buffer
      - .actual_access:  read_only
        .address_space:  global
        .offset:         48
        .size:           8
        .value_kind:     global_buffer
      - .actual_access:  read_only
        .address_space:  global
        .offset:         56
        .size:           8
        .value_kind:     global_buffer
      - .actual_access:  read_only
        .address_space:  global
        .offset:         64
        .size:           8
        .value_kind:     global_buffer
      - .actual_access:  write_only
        .address_space:  global
        .offset:         72
        .size:           8
        .value_kind:     global_buffer
      - .address_space:  global
        .offset:         80
        .size:           8
        .value_kind:     global_buffer
      - .offset:         88
        .size:           4
        .value_kind:     by_value
      - .offset:         92
        .size:           4
        .value_kind:     by_value
      - .offset:         96
        .size:           4
        .value_kind:     by_value
      - .offset:         100
        .size:           1
        .value_kind:     by_value
      - .offset:         101
        .size:           1
        .value_kind:     by_value
    .group_segment_fixed_size: 2064
    .kernarg_segment_align: 8
    .kernarg_segment_size: 104
    .language:       OpenCL C
    .language_version:
      - 2
      - 0
    .max_flat_workgroup_size: 512
    .name:           _ZN9rocsparseL35csrgemm_nnz_block_per_row_multipassILj512ELj16ELj2048EilEEvT3_PKS1_S3_PKT2_S3_S6_S3_S6_S3_PS4_S7_21rocsparse_index_base_S8_S8_bb
    .private_segment_fixed_size: 0
    .sgpr_count:     68
    .sgpr_spill_count: 0
    .symbol:         _ZN9rocsparseL35csrgemm_nnz_block_per_row_multipassILj512ELj16ELj2048EilEEvT3_PKS1_S3_PKT2_S3_S6_S3_S6_S3_PS4_S7_21rocsparse_index_base_S8_S8_bb.kd
    .uniform_work_group_size: 1
    .uses_dynamic_stack: false
    .vgpr_count:     21
    .vgpr_spill_count: 0
    .wavefront_size: 64
  - .agpr_count:     0
    .args:
      - .offset:         0
        .size:           4
        .value_kind:     by_value
      - .actual_access:  read_only
        .address_space:  global
        .offset:         8
        .size:           8
        .value_kind:     global_buffer
      - .actual_access:  read_only
        .address_space:  global
        .offset:         16
        .size:           8
        .value_kind:     global_buffer
      - .actual_access:  read_only
        .address_space:  global
        .offset:         24
        .size:           8
        .value_kind:     global_buffer
      - .actual_access:  read_only
        .address_space:  global
        .offset:         32
        .size:           8
        .value_kind:     global_buffer
      - .actual_access:  write_only
        .address_space:  global
        .offset:         40
        .size:           8
        .value_kind:     global_buffer
      - .offset:         48
        .size:           4
        .value_kind:     by_value
      - .offset:         52
        .size:           1
        .value_kind:     by_value
      - .offset:         53
        .size:           1
        .value_kind:     by_value
    .group_segment_fixed_size: 0
    .kernarg_segment_align: 8
    .kernarg_segment_size: 56
    .language:       OpenCL C
    .language_version:
      - 2
      - 0
    .max_flat_workgroup_size: 256
    .name:           _ZN9rocsparseL29csrgemm_intermediate_productsILj256ELj8EliEEvT2_PKT1_PKS1_S4_S4_PS2_21rocsparse_index_base_bb
    .private_segment_fixed_size: 0
    .sgpr_count:     18
    .sgpr_spill_count: 0
    .symbol:         _ZN9rocsparseL29csrgemm_intermediate_productsILj256ELj8EliEEvT2_PKT1_PKS1_S4_S4_PS2_21rocsparse_index_base_bb.kd
    .uniform_work_group_size: 1
    .uses_dynamic_stack: false
    .vgpr_count:     16
    .vgpr_spill_count: 0
    .wavefront_size: 64
  - .agpr_count:     0
    .args:
      - .offset:         0
        .size:           4
        .value_kind:     by_value
      - .address_space:  global
        .offset:         8
        .size:           8
        .value_kind:     global_buffer
      - .actual_access:  write_only
        .address_space:  global
        .offset:         16
        .size:           8
        .value_kind:     global_buffer
      - .offset:         24
        .size:           4
        .value_kind:     by_value
      - .offset:         32
        .size:           4
        .value_kind:     hidden_block_count_x
      - .offset:         36
        .size:           4
        .value_kind:     hidden_block_count_y
      - .offset:         40
        .size:           4
        .value_kind:     hidden_block_count_z
      - .offset:         44
        .size:           2
        .value_kind:     hidden_group_size_x
      - .offset:         46
        .size:           2
        .value_kind:     hidden_group_size_y
      - .offset:         48
        .size:           2
        .value_kind:     hidden_group_size_z
      - .offset:         50
        .size:           2
        .value_kind:     hidden_remainder_x
      - .offset:         52
        .size:           2
        .value_kind:     hidden_remainder_y
      - .offset:         54
        .size:           2
        .value_kind:     hidden_remainder_z
      - .offset:         72
        .size:           8
        .value_kind:     hidden_global_offset_x
      - .offset:         80
        .size:           8
        .value_kind:     hidden_global_offset_y
      - .offset:         88
        .size:           8
        .value_kind:     hidden_global_offset_z
      - .offset:         96
        .size:           2
        .value_kind:     hidden_grid_dims
    .group_segment_fixed_size: 11264
    .kernarg_segment_align: 8
    .kernarg_segment_size: 288
    .language:       OpenCL C
    .language_version:
      - 2
      - 0
    .max_flat_workgroup_size: 256
    .name:           _ZN9rocsparseL26csrgemm_group_reduce_part1ILj256ELj11EliEEvT2_PT1_PS1_j
    .private_segment_fixed_size: 0
    .sgpr_count:     58
    .sgpr_spill_count: 0
    .symbol:         _ZN9rocsparseL26csrgemm_group_reduce_part1ILj256ELj11EliEEvT2_PT1_PS1_j.kd
    .uniform_work_group_size: 1
    .uses_dynamic_stack: false
    .vgpr_count:     23
    .vgpr_spill_count: 0
    .wavefront_size: 64
  - .agpr_count:     0
    .args:
      - .offset:         0
        .size:           4
        .value_kind:     by_value
      - .actual_access:  read_only
        .address_space:  global
        .offset:         8
        .size:           8
        .value_kind:     global_buffer
      - .actual_access:  read_only
        .address_space:  global
        .offset:         16
        .size:           8
        .value_kind:     global_buffer
      - .actual_access:  read_only
        .address_space:  global
        .offset:         24
        .size:           8
        .value_kind:     global_buffer
      - .actual_access:  read_only
        .address_space:  global
        .offset:         32
        .size:           8
        .value_kind:     global_buffer
      - .actual_access:  read_only
        .address_space:  global
        .offset:         40
        .size:           8
        .value_kind:     global_buffer
      - .actual_access:  read_only
        .address_space:  global
        .offset:         48
        .size:           8
        .value_kind:     global_buffer
      - .actual_access:  read_only
        .address_space:  global
        .offset:         56
        .size:           8
        .value_kind:     global_buffer
      - .actual_access:  read_only
        .address_space:  global
        .offset:         64
        .size:           8
        .value_kind:     global_buffer
      - .actual_access:  write_only
        .address_space:  global
        .offset:         72
        .size:           8
        .value_kind:     global_buffer
      - .offset:         80
        .size:           4
        .value_kind:     by_value
      - .offset:         84
        .size:           4
        .value_kind:     by_value
      - .offset:         88
        .size:           4
        .value_kind:     by_value
      - .offset:         92
        .size:           1
        .value_kind:     by_value
      - .offset:         93
        .size:           1
        .value_kind:     by_value
    .group_segment_fixed_size: 4096
    .kernarg_segment_align: 8
    .kernarg_segment_size: 96
    .language:       OpenCL C
    .language_version:
      - 2
      - 0
    .max_flat_workgroup_size: 128
    .name:           _ZN9rocsparseL22csrgemm_nnz_wf_per_rowILj128ELj4ELj32ELj79EliEEvT4_PKS1_S3_PKT3_S3_S6_S3_S6_S3_PS4_21rocsparse_index_base_S8_S8_bb
    .private_segment_fixed_size: 0
    .sgpr_count:     46
    .sgpr_spill_count: 0
    .symbol:         _ZN9rocsparseL22csrgemm_nnz_wf_per_rowILj128ELj4ELj32ELj79EliEEvT4_PKS1_S3_PKT3_S3_S6_S3_S6_S3_PS4_21rocsparse_index_base_S8_S8_bb.kd
    .uniform_work_group_size: 1
    .uses_dynamic_stack: false
    .vgpr_count:     20
    .vgpr_spill_count: 0
    .wavefront_size: 64
  - .agpr_count:     0
    .args:
      - .offset:         0
        .size:           4
        .value_kind:     by_value
      - .actual_access:  read_only
        .address_space:  global
        .offset:         8
        .size:           8
        .value_kind:     global_buffer
      - .actual_access:  read_only
        .address_space:  global
        .offset:         16
        .size:           8
        .value_kind:     global_buffer
      - .actual_access:  read_only
        .address_space:  global
        .offset:         24
        .size:           8
        .value_kind:     global_buffer
      - .actual_access:  read_only
        .address_space:  global
        .offset:         32
        .size:           8
        .value_kind:     global_buffer
      - .actual_access:  read_only
        .address_space:  global
        .offset:         40
        .size:           8
        .value_kind:     global_buffer
      - .actual_access:  read_only
        .address_space:  global
        .offset:         48
        .size:           8
        .value_kind:     global_buffer
      - .actual_access:  read_only
        .address_space:  global
        .offset:         56
        .size:           8
        .value_kind:     global_buffer
      - .actual_access:  read_only
        .address_space:  global
        .offset:         64
        .size:           8
        .value_kind:     global_buffer
      - .actual_access:  write_only
        .address_space:  global
        .offset:         72
        .size:           8
        .value_kind:     global_buffer
      - .offset:         80
        .size:           4
        .value_kind:     by_value
      - .offset:         84
        .size:           4
        .value_kind:     by_value
      - .offset:         88
        .size:           4
        .value_kind:     by_value
      - .offset:         92
        .size:           1
        .value_kind:     by_value
      - .offset:         93
        .size:           1
        .value_kind:     by_value
    .group_segment_fixed_size: 8192
    .kernarg_segment_align: 8
    .kernarg_segment_size: 96
    .language:       OpenCL C
    .language_version:
      - 2
      - 0
    .max_flat_workgroup_size: 256
    .name:           _ZN9rocsparseL22csrgemm_nnz_wf_per_rowILj256ELj8ELj64ELj79EliEEvT4_PKS1_S3_PKT3_S3_S6_S3_S6_S3_PS4_21rocsparse_index_base_S8_S8_bb
    .private_segment_fixed_size: 0
    .sgpr_count:     46
    .sgpr_spill_count: 0
    .symbol:         _ZN9rocsparseL22csrgemm_nnz_wf_per_rowILj256ELj8ELj64ELj79EliEEvT4_PKS1_S3_PKT3_S3_S6_S3_S6_S3_PS4_21rocsparse_index_base_S8_S8_bb.kd
    .uniform_work_group_size: 1
    .uses_dynamic_stack: false
    .vgpr_count:     20
    .vgpr_spill_count: 0
    .wavefront_size: 64
  - .agpr_count:     0
    .args:
      - .actual_access:  read_only
        .address_space:  global
        .offset:         0
        .size:           8
        .value_kind:     global_buffer
      - .actual_access:  read_only
        .address_space:  global
        .offset:         8
        .size:           8
        .value_kind:     global_buffer
      - .actual_access:  read_only
        .address_space:  global
        .offset:         16
        .size:           8
        .value_kind:     global_buffer
      - .actual_access:  read_only
        .address_space:  global
        .offset:         24
        .size:           8
        .value_kind:     global_buffer
      - .actual_access:  read_only
        .address_space:  global
        .offset:         32
        .size:           8
        .value_kind:     global_buffer
      - .actual_access:  read_only
        .address_space:  global
        .offset:         40
        .size:           8
        .value_kind:     global_buffer
      - .actual_access:  read_only
        .address_space:  global
        .offset:         48
        .size:           8
        .value_kind:     global_buffer
      - .actual_access:  read_only
        .address_space:  global
        .offset:         56
        .size:           8
        .value_kind:     global_buffer
      - .actual_access:  write_only
        .address_space:  global
        .offset:         64
        .size:           8
        .value_kind:     global_buffer
      - .offset:         72
        .size:           4
        .value_kind:     by_value
      - .offset:         76
        .size:           4
        .value_kind:     by_value
      - .offset:         80
        .size:           4
        .value_kind:     by_value
      - .offset:         84
        .size:           1
        .value_kind:     by_value
      - .offset:         85
        .size:           1
        .value_kind:     by_value
    .group_segment_fixed_size: 0
    .kernarg_segment_align: 8
    .kernarg_segment_size: 88
    .language:       OpenCL C
    .language_version:
      - 2
      - 0
    .max_flat_workgroup_size: 128
    .name:           _ZN9rocsparseL25csrgemm_nnz_block_per_rowILj128ELj8ELj512ELj79EliEEvPKT4_S3_PKT3_S3_S6_S3_S6_S3_PS4_21rocsparse_index_base_S8_S8_bb
    .private_segment_fixed_size: 0
    .sgpr_count:     56
    .sgpr_spill_count: 0
    .symbol:         _ZN9rocsparseL25csrgemm_nnz_block_per_rowILj128ELj8ELj512ELj79EliEEvPKT4_S3_PKT3_S3_S6_S3_S6_S3_PS4_21rocsparse_index_base_S8_S8_bb.kd
    .uniform_work_group_size: 1
    .uses_dynamic_stack: false
    .vgpr_count:     22
    .vgpr_spill_count: 0
    .wavefront_size: 64
  - .agpr_count:     0
    .args:
      - .actual_access:  read_only
        .address_space:  global
        .offset:         0
        .size:           8
        .value_kind:     global_buffer
      - .actual_access:  read_only
        .address_space:  global
        .offset:         8
        .size:           8
        .value_kind:     global_buffer
      - .actual_access:  read_only
        .address_space:  global
        .offset:         16
        .size:           8
        .value_kind:     global_buffer
      - .actual_access:  read_only
        .address_space:  global
        .offset:         24
        .size:           8
        .value_kind:     global_buffer
      - .actual_access:  read_only
        .address_space:  global
        .offset:         32
        .size:           8
        .value_kind:     global_buffer
      - .actual_access:  read_only
        .address_space:  global
        .offset:         40
        .size:           8
        .value_kind:     global_buffer
      - .actual_access:  read_only
        .address_space:  global
        .offset:         48
        .size:           8
        .value_kind:     global_buffer
      - .actual_access:  read_only
        .address_space:  global
        .offset:         56
        .size:           8
        .value_kind:     global_buffer
      - .actual_access:  write_only
        .address_space:  global
        .offset:         64
        .size:           8
        .value_kind:     global_buffer
      - .offset:         72
        .size:           4
        .value_kind:     by_value
      - .offset:         76
        .size:           4
        .value_kind:     by_value
      - .offset:         80
        .size:           4
        .value_kind:     by_value
      - .offset:         84
        .size:           1
        .value_kind:     by_value
      - .offset:         85
        .size:           1
        .value_kind:     by_value
    .group_segment_fixed_size: 0
    .kernarg_segment_align: 8
    .kernarg_segment_size: 88
    .language:       OpenCL C
    .language_version:
      - 2
      - 0
    .max_flat_workgroup_size: 128
    .name:           _ZN9rocsparseL25csrgemm_nnz_block_per_rowILj128ELj8ELj1024ELj79EliEEvPKT4_S3_PKT3_S3_S6_S3_S6_S3_PS4_21rocsparse_index_base_S8_S8_bb
    .private_segment_fixed_size: 0
    .sgpr_count:     56
    .sgpr_spill_count: 0
    .symbol:         _ZN9rocsparseL25csrgemm_nnz_block_per_rowILj128ELj8ELj1024ELj79EliEEvPKT4_S3_PKT3_S3_S6_S3_S6_S3_PS4_21rocsparse_index_base_S8_S8_bb.kd
    .uniform_work_group_size: 1
    .uses_dynamic_stack: false
    .vgpr_count:     20
    .vgpr_spill_count: 0
    .wavefront_size: 64
  - .agpr_count:     0
    .args:
      - .actual_access:  read_only
        .address_space:  global
        .offset:         0
        .size:           8
        .value_kind:     global_buffer
      - .actual_access:  read_only
        .address_space:  global
        .offset:         8
        .size:           8
        .value_kind:     global_buffer
      - .actual_access:  read_only
        .address_space:  global
        .offset:         16
        .size:           8
        .value_kind:     global_buffer
      - .actual_access:  read_only
        .address_space:  global
        .offset:         24
        .size:           8
        .value_kind:     global_buffer
      - .actual_access:  read_only
        .address_space:  global
        .offset:         32
        .size:           8
        .value_kind:     global_buffer
      - .actual_access:  read_only
        .address_space:  global
        .offset:         40
        .size:           8
        .value_kind:     global_buffer
      - .actual_access:  read_only
        .address_space:  global
        .offset:         48
        .size:           8
        .value_kind:     global_buffer
      - .actual_access:  read_only
        .address_space:  global
        .offset:         56
        .size:           8
        .value_kind:     global_buffer
      - .actual_access:  write_only
        .address_space:  global
        .offset:         64
        .size:           8
        .value_kind:     global_buffer
      - .offset:         72
        .size:           4
        .value_kind:     by_value
      - .offset:         76
        .size:           4
        .value_kind:     by_value
      - .offset:         80
        .size:           4
        .value_kind:     by_value
      - .offset:         84
        .size:           1
        .value_kind:     by_value
      - .offset:         85
        .size:           1
        .value_kind:     by_value
    .group_segment_fixed_size: 0
    .kernarg_segment_align: 8
    .kernarg_segment_size: 88
    .language:       OpenCL C
    .language_version:
      - 2
      - 0
    .max_flat_workgroup_size: 256
    .name:           _ZN9rocsparseL25csrgemm_nnz_block_per_rowILj256ELj16ELj2048ELj79EliEEvPKT4_S3_PKT3_S3_S6_S3_S6_S3_PS4_21rocsparse_index_base_S8_S8_bb
    .private_segment_fixed_size: 0
    .sgpr_count:     56
    .sgpr_spill_count: 0
    .symbol:         _ZN9rocsparseL25csrgemm_nnz_block_per_rowILj256ELj16ELj2048ELj79EliEEvPKT4_S3_PKT3_S3_S6_S3_S6_S3_PS4_21rocsparse_index_base_S8_S8_bb.kd
    .uniform_work_group_size: 1
    .uses_dynamic_stack: false
    .vgpr_count:     20
    .vgpr_spill_count: 0
    .wavefront_size: 64
  - .agpr_count:     0
    .args:
      - .actual_access:  read_only
        .address_space:  global
        .offset:         0
        .size:           8
        .value_kind:     global_buffer
      - .actual_access:  read_only
        .address_space:  global
        .offset:         8
        .size:           8
        .value_kind:     global_buffer
      - .actual_access:  read_only
        .address_space:  global
        .offset:         16
        .size:           8
        .value_kind:     global_buffer
      - .actual_access:  read_only
        .address_space:  global
        .offset:         24
        .size:           8
        .value_kind:     global_buffer
      - .actual_access:  read_only
        .address_space:  global
        .offset:         32
        .size:           8
        .value_kind:     global_buffer
      - .actual_access:  read_only
        .address_space:  global
        .offset:         40
        .size:           8
        .value_kind:     global_buffer
      - .actual_access:  read_only
        .address_space:  global
        .offset:         48
        .size:           8
        .value_kind:     global_buffer
      - .actual_access:  read_only
        .address_space:  global
        .offset:         56
        .size:           8
        .value_kind:     global_buffer
      - .actual_access:  write_only
        .address_space:  global
        .offset:         64
        .size:           8
        .value_kind:     global_buffer
      - .offset:         72
        .size:           4
        .value_kind:     by_value
      - .offset:         76
        .size:           4
        .value_kind:     by_value
      - .offset:         80
        .size:           4
        .value_kind:     by_value
      - .offset:         84
        .size:           1
        .value_kind:     by_value
      - .offset:         85
        .size:           1
        .value_kind:     by_value
    .group_segment_fixed_size: 0
    .kernarg_segment_align: 8
    .kernarg_segment_size: 88
    .language:       OpenCL C
    .language_version:
      - 2
      - 0
    .max_flat_workgroup_size: 512
    .name:           _ZN9rocsparseL25csrgemm_nnz_block_per_rowILj512ELj16ELj4096ELj79EliEEvPKT4_S3_PKT3_S3_S6_S3_S6_S3_PS4_21rocsparse_index_base_S8_S8_bb
    .private_segment_fixed_size: 0
    .sgpr_count:     50
    .sgpr_spill_count: 0
    .symbol:         _ZN9rocsparseL25csrgemm_nnz_block_per_rowILj512ELj16ELj4096ELj79EliEEvPKT4_S3_PKT3_S3_S6_S3_S6_S3_PS4_21rocsparse_index_base_S8_S8_bb.kd
    .uniform_work_group_size: 1
    .uses_dynamic_stack: false
    .vgpr_count:     22
    .vgpr_spill_count: 0
    .wavefront_size: 64
  - .agpr_count:     0
    .args:
      - .actual_access:  read_only
        .address_space:  global
        .offset:         0
        .size:           8
        .value_kind:     global_buffer
      - .actual_access:  read_only
        .address_space:  global
        .offset:         8
        .size:           8
        .value_kind:     global_buffer
      - .actual_access:  read_only
        .address_space:  global
        .offset:         16
        .size:           8
        .value_kind:     global_buffer
      - .actual_access:  read_only
        .address_space:  global
        .offset:         24
        .size:           8
        .value_kind:     global_buffer
      - .actual_access:  read_only
        .address_space:  global
        .offset:         32
        .size:           8
        .value_kind:     global_buffer
      - .actual_access:  read_only
        .address_space:  global
        .offset:         40
        .size:           8
        .value_kind:     global_buffer
      - .actual_access:  read_only
        .address_space:  global
        .offset:         48
        .size:           8
        .value_kind:     global_buffer
      - .actual_access:  read_only
        .address_space:  global
        .offset:         56
        .size:           8
        .value_kind:     global_buffer
      - .actual_access:  write_only
        .address_space:  global
        .offset:         64
        .size:           8
        .value_kind:     global_buffer
      - .offset:         72
        .size:           4
        .value_kind:     by_value
      - .offset:         76
        .size:           4
        .value_kind:     by_value
      - .offset:         80
        .size:           4
        .value_kind:     by_value
      - .offset:         84
        .size:           1
        .value_kind:     by_value
      - .offset:         85
        .size:           1
        .value_kind:     by_value
    .group_segment_fixed_size: 0
    .kernarg_segment_align: 8
    .kernarg_segment_size: 88
    .language:       OpenCL C
    .language_version:
      - 2
      - 0
    .max_flat_workgroup_size: 1024
    .name:           _ZN9rocsparseL25csrgemm_nnz_block_per_rowILj1024ELj32ELj8192ELj79EliEEvPKT4_S3_PKT3_S3_S6_S3_S6_S3_PS4_21rocsparse_index_base_S8_S8_bb
    .private_segment_fixed_size: 0
    .sgpr_count:     50
    .sgpr_spill_count: 0
    .symbol:         _ZN9rocsparseL25csrgemm_nnz_block_per_rowILj1024ELj32ELj8192ELj79EliEEvPKT4_S3_PKT3_S3_S6_S3_S6_S3_PS4_21rocsparse_index_base_S8_S8_bb.kd
    .uniform_work_group_size: 1
    .uses_dynamic_stack: false
    .vgpr_count:     22
    .vgpr_spill_count: 0
    .wavefront_size: 64
  - .agpr_count:     0
    .args:
      - .actual_access:  read_only
        .address_space:  global
        .offset:         0
        .size:           8
        .value_kind:     global_buffer
      - .actual_access:  read_only
        .address_space:  global
        .offset:         8
        .size:           8
        .value_kind:     global_buffer
      - .actual_access:  read_only
        .address_space:  global
        .offset:         16
        .size:           8
        .value_kind:     global_buffer
      - .actual_access:  read_only
        .address_space:  global
        .offset:         24
        .size:           8
        .value_kind:     global_buffer
      - .actual_access:  read_only
        .address_space:  global
        .offset:         32
        .size:           8
        .value_kind:     global_buffer
      - .actual_access:  read_only
        .address_space:  global
        .offset:         40
        .size:           8
        .value_kind:     global_buffer
      - .actual_access:  read_only
        .address_space:  global
        .offset:         48
        .size:           8
        .value_kind:     global_buffer
      - .actual_access:  read_only
        .address_space:  global
        .offset:         56
        .size:           8
        .value_kind:     global_buffer
      - .actual_access:  write_only
        .address_space:  global
        .offset:         64
        .size:           8
        .value_kind:     global_buffer
      - .offset:         72
        .size:           4
        .value_kind:     by_value
      - .offset:         76
        .size:           4
        .value_kind:     by_value
      - .offset:         80
        .size:           4
        .value_kind:     by_value
      - .offset:         84
        .size:           1
        .value_kind:     by_value
      - .offset:         85
        .size:           1
        .value_kind:     by_value
    .group_segment_fixed_size: 0
    .kernarg_segment_align: 8
    .kernarg_segment_size: 88
    .language:       OpenCL C
    .language_version:
      - 2
      - 0
    .max_flat_workgroup_size: 1024
    .name:           _ZN9rocsparseL25csrgemm_nnz_block_per_rowILj1024ELj32ELj16384ELj79EliEEvPKT4_S3_PKT3_S3_S6_S3_S6_S3_PS4_21rocsparse_index_base_S8_S8_bb
    .private_segment_fixed_size: 0
    .sgpr_count:     56
    .sgpr_spill_count: 0
    .symbol:         _ZN9rocsparseL25csrgemm_nnz_block_per_rowILj1024ELj32ELj16384ELj79EliEEvPKT4_S3_PKT3_S3_S6_S3_S6_S3_PS4_21rocsparse_index_base_S8_S8_bb.kd
    .uniform_work_group_size: 1
    .uses_dynamic_stack: false
    .vgpr_count:     20
    .vgpr_spill_count: 0
    .wavefront_size: 64
  - .agpr_count:     0
    .args:
      - .actual_access:  read_only
        .address_space:  global
        .offset:         0
        .size:           8
        .value_kind:     global_buffer
      - .actual_access:  read_only
        .address_space:  global
        .offset:         8
        .size:           8
        .value_kind:     global_buffer
      - .actual_access:  read_only
        .address_space:  global
        .offset:         16
        .size:           8
        .value_kind:     global_buffer
      - .actual_access:  read_only
        .address_space:  global
        .offset:         24
        .size:           8
        .value_kind:     global_buffer
      - .actual_access:  read_only
        .address_space:  global
        .offset:         32
        .size:           8
        .value_kind:     global_buffer
      - .actual_access:  read_only
        .address_space:  global
        .offset:         40
        .size:           8
        .value_kind:     global_buffer
      - .actual_access:  read_only
        .address_space:  global
        .offset:         48
        .size:           8
        .value_kind:     global_buffer
      - .actual_access:  read_only
        .address_space:  global
        .offset:         56
        .size:           8
        .value_kind:     global_buffer
      - .actual_access:  write_only
        .address_space:  global
        .offset:         64
        .size:           8
        .value_kind:     global_buffer
      - .offset:         72
        .size:           4
        .value_kind:     by_value
      - .offset:         76
        .size:           4
        .value_kind:     by_value
      - .offset:         80
        .size:           4
        .value_kind:     by_value
      - .offset:         84
        .size:           1
        .value_kind:     by_value
      - .offset:         85
        .size:           1
        .value_kind:     by_value
    .group_segment_fixed_size: 0
    .kernarg_segment_align: 8
    .kernarg_segment_size: 88
    .language:       OpenCL C
    .language_version:
      - 2
      - 0
    .max_flat_workgroup_size: 1024
    .name:           _ZN9rocsparseL25csrgemm_nnz_block_per_rowILj1024ELj32ELj32768ELj79EliEEvPKT4_S3_PKT3_S3_S6_S3_S6_S3_PS4_21rocsparse_index_base_S8_S8_bb
    .private_segment_fixed_size: 0
    .sgpr_count:     56
    .sgpr_spill_count: 0
    .symbol:         _ZN9rocsparseL25csrgemm_nnz_block_per_rowILj1024ELj32ELj32768ELj79EliEEvPKT4_S3_PKT3_S3_S6_S3_S6_S3_PS4_21rocsparse_index_base_S8_S8_bb.kd
    .uniform_work_group_size: 1
    .uses_dynamic_stack: false
    .vgpr_count:     20
    .vgpr_spill_count: 0
    .wavefront_size: 64
  - .agpr_count:     0
    .args:
      - .actual_access:  read_only
        .address_space:  global
        .offset:         0
        .size:           8
        .value_kind:     global_buffer
      - .actual_access:  read_only
        .address_space:  global
        .offset:         8
        .size:           8
        .value_kind:     global_buffer
      - .actual_access:  read_only
        .address_space:  global
        .offset:         16
        .size:           8
        .value_kind:     global_buffer
      - .actual_access:  read_only
        .address_space:  global
        .offset:         24
        .size:           8
        .value_kind:     global_buffer
      - .actual_access:  read_only
        .address_space:  global
        .offset:         32
        .size:           8
        .value_kind:     global_buffer
      - .actual_access:  read_only
        .address_space:  global
        .offset:         40
        .size:           8
        .value_kind:     global_buffer
      - .actual_access:  read_only
        .address_space:  global
        .offset:         48
        .size:           8
        .value_kind:     global_buffer
      - .actual_access:  read_only
        .address_space:  global
        .offset:         56
        .size:           8
        .value_kind:     global_buffer
      - .actual_access:  write_only
        .address_space:  global
        .offset:         64
        .size:           8
        .value_kind:     global_buffer
      - .offset:         72
        .size:           4
        .value_kind:     by_value
      - .offset:         76
        .size:           4
        .value_kind:     by_value
      - .offset:         80
        .size:           4
        .value_kind:     by_value
      - .offset:         84
        .size:           1
        .value_kind:     by_value
      - .offset:         85
        .size:           1
        .value_kind:     by_value
    .group_segment_fixed_size: 0
    .kernarg_segment_align: 8
    .kernarg_segment_size: 88
    .language:       OpenCL C
    .language_version:
      - 2
      - 0
    .max_flat_workgroup_size: 1024
    .name:           _ZN9rocsparseL25csrgemm_nnz_block_per_rowILj1024ELj32ELj65536ELj79EliEEvPKT4_S3_PKT3_S3_S6_S3_S6_S3_PS4_21rocsparse_index_base_S8_S8_bb
    .private_segment_fixed_size: 0
    .sgpr_count:     56
    .sgpr_spill_count: 0
    .symbol:         _ZN9rocsparseL25csrgemm_nnz_block_per_rowILj1024ELj32ELj65536ELj79EliEEvPKT4_S3_PKT3_S3_S6_S3_S6_S3_PS4_21rocsparse_index_base_S8_S8_bb.kd
    .uniform_work_group_size: 1
    .uses_dynamic_stack: false
    .vgpr_count:     20
    .vgpr_spill_count: 0
    .wavefront_size: 64
  - .agpr_count:     0
    .args:
      - .offset:         0
        .size:           4
        .value_kind:     by_value
      - .actual_access:  read_only
        .address_space:  global
        .offset:         8
        .size:           8
        .value_kind:     global_buffer
      - .actual_access:  read_only
        .address_space:  global
        .offset:         16
        .size:           8
        .value_kind:     global_buffer
      - .actual_access:  read_only
        .address_space:  global
        .offset:         24
        .size:           8
        .value_kind:     global_buffer
      - .actual_access:  read_only
        .address_space:  global
        .offset:         32
        .size:           8
        .value_kind:     global_buffer
      - .actual_access:  read_only
        .address_space:  global
        .offset:         40
        .size:           8
        .value_kind:     global_buffer
      - .actual_access:  read_only
        .address_space:  global
        .offset:         48
        .size:           8
        .value_kind:     global_buffer
      - .actual_access:  read_only
        .address_space:  global
        .offset:         56
        .size:           8
        .value_kind:     global_buffer
      - .actual_access:  read_only
        .address_space:  global
        .offset:         64
        .size:           8
        .value_kind:     global_buffer
      - .actual_access:  write_only
        .address_space:  global
        .offset:         72
        .size:           8
        .value_kind:     global_buffer
      - .address_space:  global
        .offset:         80
        .size:           8
        .value_kind:     global_buffer
      - .offset:         88
        .size:           4
        .value_kind:     by_value
      - .offset:         92
        .size:           4
        .value_kind:     by_value
      - .offset:         96
        .size:           4
        .value_kind:     by_value
      - .offset:         100
        .size:           1
        .value_kind:     by_value
      - .offset:         101
        .size:           1
        .value_kind:     by_value
    .group_segment_fixed_size: 2056
    .kernarg_segment_align: 8
    .kernarg_segment_size: 104
    .language:       OpenCL C
    .language_version:
      - 2
      - 0
    .max_flat_workgroup_size: 512
    .name:           _ZN9rocsparseL35csrgemm_nnz_block_per_row_multipassILj512ELj16ELj2048EliEEvT3_PKS1_S3_PKT2_S3_S6_S3_S6_S3_PS4_S7_21rocsparse_index_base_S8_S8_bb
    .private_segment_fixed_size: 0
    .sgpr_count:     64
    .sgpr_spill_count: 0
    .symbol:         _ZN9rocsparseL35csrgemm_nnz_block_per_row_multipassILj512ELj16ELj2048EliEEvT3_PKS1_S3_PKT2_S3_S6_S3_S6_S3_PS4_S7_21rocsparse_index_base_S8_S8_bb.kd
    .uniform_work_group_size: 1
    .uses_dynamic_stack: false
    .vgpr_count:     29
    .vgpr_spill_count: 0
    .wavefront_size: 64
  - .agpr_count:     0
    .args:
      - .address_space:  global
        .offset:         0
        .size:           8
        .value_kind:     global_buffer
    .group_segment_fixed_size: 0
    .kernarg_segment_align: 8
    .kernarg_segment_size: 8
    .language:       OpenCL C
    .language_version:
      - 2
      - 0
    .max_flat_workgroup_size: 1
    .name:           _ZN9rocsparseL18csrgemm_index_baseILj1ElEEvPT0_
    .private_segment_fixed_size: 0
    .sgpr_count:     10
    .sgpr_spill_count: 0
    .symbol:         _ZN9rocsparseL18csrgemm_index_baseILj1ElEEvPT0_.kd
    .uniform_work_group_size: 1
    .uses_dynamic_stack: false
    .vgpr_count:     3
    .vgpr_spill_count: 0
    .wavefront_size: 64
  - .agpr_count:     0
    .args:
      - .offset:         0
        .size:           8
        .value_kind:     by_value
      - .actual_access:  read_only
        .address_space:  global
        .offset:         8
        .size:           8
        .value_kind:     global_buffer
      - .actual_access:  read_only
        .address_space:  global
        .offset:         16
        .size:           8
        .value_kind:     global_buffer
      - .actual_access:  read_only
        .address_space:  global
        .offset:         24
        .size:           8
        .value_kind:     global_buffer
      - .actual_access:  read_only
        .address_space:  global
        .offset:         32
        .size:           8
        .value_kind:     global_buffer
      - .actual_access:  write_only
        .address_space:  global
        .offset:         40
        .size:           8
        .value_kind:     global_buffer
      - .offset:         48
        .size:           4
        .value_kind:     by_value
      - .offset:         52
        .size:           1
        .value_kind:     by_value
      - .offset:         53
        .size:           1
        .value_kind:     by_value
    .group_segment_fixed_size: 0
    .kernarg_segment_align: 8
    .kernarg_segment_size: 56
    .language:       OpenCL C
    .language_version:
      - 2
      - 0
    .max_flat_workgroup_size: 256
    .name:           _ZN9rocsparseL29csrgemm_intermediate_productsILj256ELj8EllEEvT2_PKT1_PKS1_S4_S4_PS2_21rocsparse_index_base_bb
    .private_segment_fixed_size: 0
    .sgpr_count:     19
    .sgpr_spill_count: 0
    .symbol:         _ZN9rocsparseL29csrgemm_intermediate_productsILj256ELj8EllEEvT2_PKT1_PKS1_S4_S4_PS2_21rocsparse_index_base_bb.kd
    .uniform_work_group_size: 1
    .uses_dynamic_stack: false
    .vgpr_count:     16
    .vgpr_spill_count: 0
    .wavefront_size: 64
  - .agpr_count:     0
    .args:
      - .offset:         0
        .size:           8
        .value_kind:     by_value
      - .address_space:  global
        .offset:         8
        .size:           8
        .value_kind:     global_buffer
      - .actual_access:  write_only
        .address_space:  global
        .offset:         16
        .size:           8
        .value_kind:     global_buffer
      - .offset:         24
        .size:           4
        .value_kind:     by_value
      - .offset:         32
        .size:           4
        .value_kind:     hidden_block_count_x
      - .offset:         36
        .size:           4
        .value_kind:     hidden_block_count_y
      - .offset:         40
        .size:           4
        .value_kind:     hidden_block_count_z
      - .offset:         44
        .size:           2
        .value_kind:     hidden_group_size_x
      - .offset:         46
        .size:           2
        .value_kind:     hidden_group_size_y
      - .offset:         48
        .size:           2
        .value_kind:     hidden_group_size_z
      - .offset:         50
        .size:           2
        .value_kind:     hidden_remainder_x
      - .offset:         52
        .size:           2
        .value_kind:     hidden_remainder_y
      - .offset:         54
        .size:           2
        .value_kind:     hidden_remainder_z
      - .offset:         72
        .size:           8
        .value_kind:     hidden_global_offset_x
      - .offset:         80
        .size:           8
        .value_kind:     hidden_global_offset_y
      - .offset:         88
        .size:           8
        .value_kind:     hidden_global_offset_z
      - .offset:         96
        .size:           2
        .value_kind:     hidden_grid_dims
    .group_segment_fixed_size: 22528
    .kernarg_segment_align: 8
    .kernarg_segment_size: 288
    .language:       OpenCL C
    .language_version:
      - 2
      - 0
    .max_flat_workgroup_size: 256
    .name:           _ZN9rocsparseL26csrgemm_group_reduce_part1ILj256ELj11EllEEvT2_PT1_PS1_j
    .private_segment_fixed_size: 0
    .sgpr_count:     62
    .sgpr_spill_count: 0
    .symbol:         _ZN9rocsparseL26csrgemm_group_reduce_part1ILj256ELj11EllEEvT2_PT1_PS1_j.kd
    .uniform_work_group_size: 1
    .uses_dynamic_stack: false
    .vgpr_count:     34
    .vgpr_spill_count: 0
    .wavefront_size: 64
  - .agpr_count:     0
    .args:
      - .offset:         0
        .size:           8
        .value_kind:     by_value
      - .actual_access:  read_only
        .address_space:  global
        .offset:         8
        .size:           8
        .value_kind:     global_buffer
      - .actual_access:  read_only
        .address_space:  global
        .offset:         16
        .size:           8
        .value_kind:     global_buffer
      - .actual_access:  read_only
        .address_space:  global
        .offset:         24
        .size:           8
        .value_kind:     global_buffer
      - .actual_access:  read_only
        .address_space:  global
        .offset:         32
        .size:           8
        .value_kind:     global_buffer
      - .actual_access:  read_only
        .address_space:  global
        .offset:         40
        .size:           8
        .value_kind:     global_buffer
      - .actual_access:  read_only
        .address_space:  global
        .offset:         48
        .size:           8
        .value_kind:     global_buffer
      - .actual_access:  read_only
        .address_space:  global
        .offset:         56
        .size:           8
        .value_kind:     global_buffer
      - .actual_access:  read_only
        .address_space:  global
        .offset:         64
        .size:           8
        .value_kind:     global_buffer
      - .actual_access:  write_only
        .address_space:  global
        .offset:         72
        .size:           8
        .value_kind:     global_buffer
      - .offset:         80
        .size:           4
        .value_kind:     by_value
      - .offset:         84
        .size:           4
        .value_kind:     by_value
      - .offset:         88
        .size:           4
        .value_kind:     by_value
      - .offset:         92
        .size:           1
        .value_kind:     by_value
      - .offset:         93
        .size:           1
        .value_kind:     by_value
    .group_segment_fixed_size: 8192
    .kernarg_segment_align: 8
    .kernarg_segment_size: 96
    .language:       OpenCL C
    .language_version:
      - 2
      - 0
    .max_flat_workgroup_size: 128
    .name:           _ZN9rocsparseL22csrgemm_nnz_wf_per_rowILj128ELj4ELj32ELj79EllEEvT4_PKS1_S3_PKT3_S3_S6_S3_S6_S3_PS4_21rocsparse_index_base_S8_S8_bb
    .private_segment_fixed_size: 0
    .sgpr_count:     52
    .sgpr_spill_count: 0
    .symbol:         _ZN9rocsparseL22csrgemm_nnz_wf_per_rowILj128ELj4ELj32ELj79EllEEvT4_PKS1_S3_PKT3_S3_S6_S3_S6_S3_PS4_21rocsparse_index_base_S8_S8_bb.kd
    .uniform_work_group_size: 1
    .uses_dynamic_stack: false
    .vgpr_count:     23
    .vgpr_spill_count: 0
    .wavefront_size: 64
  - .agpr_count:     0
    .args:
      - .offset:         0
        .size:           8
        .value_kind:     by_value
      - .actual_access:  read_only
        .address_space:  global
        .offset:         8
        .size:           8
        .value_kind:     global_buffer
      - .actual_access:  read_only
        .address_space:  global
        .offset:         16
        .size:           8
        .value_kind:     global_buffer
      - .actual_access:  read_only
        .address_space:  global
        .offset:         24
        .size:           8
        .value_kind:     global_buffer
      - .actual_access:  read_only
        .address_space:  global
        .offset:         32
        .size:           8
        .value_kind:     global_buffer
      - .actual_access:  read_only
        .address_space:  global
        .offset:         40
        .size:           8
        .value_kind:     global_buffer
      - .actual_access:  read_only
        .address_space:  global
        .offset:         48
        .size:           8
        .value_kind:     global_buffer
      - .actual_access:  read_only
        .address_space:  global
        .offset:         56
        .size:           8
        .value_kind:     global_buffer
      - .actual_access:  read_only
        .address_space:  global
        .offset:         64
        .size:           8
        .value_kind:     global_buffer
      - .actual_access:  write_only
        .address_space:  global
        .offset:         72
        .size:           8
        .value_kind:     global_buffer
      - .offset:         80
        .size:           4
        .value_kind:     by_value
      - .offset:         84
        .size:           4
        .value_kind:     by_value
      - .offset:         88
        .size:           4
        .value_kind:     by_value
      - .offset:         92
        .size:           1
        .value_kind:     by_value
      - .offset:         93
        .size:           1
        .value_kind:     by_value
    .group_segment_fixed_size: 16384
    .kernarg_segment_align: 8
    .kernarg_segment_size: 96
    .language:       OpenCL C
    .language_version:
      - 2
      - 0
    .max_flat_workgroup_size: 256
    .name:           _ZN9rocsparseL22csrgemm_nnz_wf_per_rowILj256ELj8ELj64ELj79EllEEvT4_PKS1_S3_PKT3_S3_S6_S3_S6_S3_PS4_21rocsparse_index_base_S8_S8_bb
    .private_segment_fixed_size: 0
    .sgpr_count:     52
    .sgpr_spill_count: 0
    .symbol:         _ZN9rocsparseL22csrgemm_nnz_wf_per_rowILj256ELj8ELj64ELj79EllEEvT4_PKS1_S3_PKT3_S3_S6_S3_S6_S3_PS4_21rocsparse_index_base_S8_S8_bb.kd
    .uniform_work_group_size: 1
    .uses_dynamic_stack: false
    .vgpr_count:     23
    .vgpr_spill_count: 0
    .wavefront_size: 64
  - .agpr_count:     0
    .args:
      - .actual_access:  read_only
        .address_space:  global
        .offset:         0
        .size:           8
        .value_kind:     global_buffer
      - .actual_access:  read_only
        .address_space:  global
        .offset:         8
        .size:           8
        .value_kind:     global_buffer
      - .actual_access:  read_only
        .address_space:  global
        .offset:         16
        .size:           8
        .value_kind:     global_buffer
      - .actual_access:  read_only
        .address_space:  global
        .offset:         24
        .size:           8
        .value_kind:     global_buffer
      - .actual_access:  read_only
        .address_space:  global
        .offset:         32
        .size:           8
        .value_kind:     global_buffer
      - .actual_access:  read_only
        .address_space:  global
        .offset:         40
        .size:           8
        .value_kind:     global_buffer
      - .actual_access:  read_only
        .address_space:  global
        .offset:         48
        .size:           8
        .value_kind:     global_buffer
      - .actual_access:  read_only
        .address_space:  global
        .offset:         56
        .size:           8
        .value_kind:     global_buffer
      - .actual_access:  write_only
        .address_space:  global
        .offset:         64
        .size:           8
        .value_kind:     global_buffer
      - .offset:         72
        .size:           4
        .value_kind:     by_value
      - .offset:         76
        .size:           4
        .value_kind:     by_value
      - .offset:         80
        .size:           4
        .value_kind:     by_value
      - .offset:         84
        .size:           1
        .value_kind:     by_value
      - .offset:         85
        .size:           1
        .value_kind:     by_value
    .group_segment_fixed_size: 0
    .kernarg_segment_align: 8
    .kernarg_segment_size: 88
    .language:       OpenCL C
    .language_version:
      - 2
      - 0
    .max_flat_workgroup_size: 128
    .name:           _ZN9rocsparseL25csrgemm_nnz_block_per_rowILj128ELj8ELj512ELj79EllEEvPKT4_S3_PKT3_S3_S6_S3_S6_S3_PS4_21rocsparse_index_base_S8_S8_bb
    .private_segment_fixed_size: 0
    .sgpr_count:     54
    .sgpr_spill_count: 0
    .symbol:         _ZN9rocsparseL25csrgemm_nnz_block_per_rowILj128ELj8ELj512ELj79EllEEvPKT4_S3_PKT3_S3_S6_S3_S6_S3_PS4_21rocsparse_index_base_S8_S8_bb.kd
    .uniform_work_group_size: 1
    .uses_dynamic_stack: false
    .vgpr_count:     24
    .vgpr_spill_count: 0
    .wavefront_size: 64
  - .agpr_count:     0
    .args:
      - .actual_access:  read_only
        .address_space:  global
        .offset:         0
        .size:           8
        .value_kind:     global_buffer
      - .actual_access:  read_only
        .address_space:  global
        .offset:         8
        .size:           8
        .value_kind:     global_buffer
      - .actual_access:  read_only
        .address_space:  global
        .offset:         16
        .size:           8
        .value_kind:     global_buffer
      - .actual_access:  read_only
        .address_space:  global
        .offset:         24
        .size:           8
        .value_kind:     global_buffer
      - .actual_access:  read_only
        .address_space:  global
        .offset:         32
        .size:           8
        .value_kind:     global_buffer
      - .actual_access:  read_only
        .address_space:  global
        .offset:         40
        .size:           8
        .value_kind:     global_buffer
      - .actual_access:  read_only
        .address_space:  global
        .offset:         48
        .size:           8
        .value_kind:     global_buffer
      - .actual_access:  read_only
        .address_space:  global
        .offset:         56
        .size:           8
        .value_kind:     global_buffer
      - .actual_access:  write_only
        .address_space:  global
        .offset:         64
        .size:           8
        .value_kind:     global_buffer
      - .offset:         72
        .size:           4
        .value_kind:     by_value
      - .offset:         76
        .size:           4
        .value_kind:     by_value
      - .offset:         80
        .size:           4
        .value_kind:     by_value
      - .offset:         84
        .size:           1
        .value_kind:     by_value
      - .offset:         85
        .size:           1
        .value_kind:     by_value
    .group_segment_fixed_size: 0
    .kernarg_segment_align: 8
    .kernarg_segment_size: 88
    .language:       OpenCL C
    .language_version:
      - 2
      - 0
    .max_flat_workgroup_size: 128
    .name:           _ZN9rocsparseL25csrgemm_nnz_block_per_rowILj128ELj8ELj1024ELj79EllEEvPKT4_S3_PKT3_S3_S6_S3_S6_S3_PS4_21rocsparse_index_base_S8_S8_bb
    .private_segment_fixed_size: 0
    .sgpr_count:     48
    .sgpr_spill_count: 0
    .symbol:         _ZN9rocsparseL25csrgemm_nnz_block_per_rowILj128ELj8ELj1024ELj79EllEEvPKT4_S3_PKT3_S3_S6_S3_S6_S3_PS4_21rocsparse_index_base_S8_S8_bb.kd
    .uniform_work_group_size: 1
    .uses_dynamic_stack: false
    .vgpr_count:     24
    .vgpr_spill_count: 0
    .wavefront_size: 64
  - .agpr_count:     0
    .args:
      - .actual_access:  read_only
        .address_space:  global
        .offset:         0
        .size:           8
        .value_kind:     global_buffer
      - .actual_access:  read_only
        .address_space:  global
        .offset:         8
        .size:           8
        .value_kind:     global_buffer
      - .actual_access:  read_only
        .address_space:  global
        .offset:         16
        .size:           8
        .value_kind:     global_buffer
      - .actual_access:  read_only
        .address_space:  global
        .offset:         24
        .size:           8
        .value_kind:     global_buffer
      - .actual_access:  read_only
        .address_space:  global
        .offset:         32
        .size:           8
        .value_kind:     global_buffer
      - .actual_access:  read_only
        .address_space:  global
        .offset:         40
        .size:           8
        .value_kind:     global_buffer
      - .actual_access:  read_only
        .address_space:  global
        .offset:         48
        .size:           8
        .value_kind:     global_buffer
      - .actual_access:  read_only
        .address_space:  global
        .offset:         56
        .size:           8
        .value_kind:     global_buffer
      - .actual_access:  write_only
        .address_space:  global
        .offset:         64
        .size:           8
        .value_kind:     global_buffer
      - .offset:         72
        .size:           4
        .value_kind:     by_value
      - .offset:         76
        .size:           4
        .value_kind:     by_value
      - .offset:         80
        .size:           4
        .value_kind:     by_value
      - .offset:         84
        .size:           1
        .value_kind:     by_value
      - .offset:         85
        .size:           1
        .value_kind:     by_value
    .group_segment_fixed_size: 0
    .kernarg_segment_align: 8
    .kernarg_segment_size: 88
    .language:       OpenCL C
    .language_version:
      - 2
      - 0
    .max_flat_workgroup_size: 256
    .name:           _ZN9rocsparseL25csrgemm_nnz_block_per_rowILj256ELj16ELj2048ELj79EllEEvPKT4_S3_PKT3_S3_S6_S3_S6_S3_PS4_21rocsparse_index_base_S8_S8_bb
    .private_segment_fixed_size: 0
    .sgpr_count:     48
    .sgpr_spill_count: 0
    .symbol:         _ZN9rocsparseL25csrgemm_nnz_block_per_rowILj256ELj16ELj2048ELj79EllEEvPKT4_S3_PKT3_S3_S6_S3_S6_S3_PS4_21rocsparse_index_base_S8_S8_bb.kd
    .uniform_work_group_size: 1
    .uses_dynamic_stack: false
    .vgpr_count:     24
    .vgpr_spill_count: 0
    .wavefront_size: 64
  - .agpr_count:     0
    .args:
      - .actual_access:  read_only
        .address_space:  global
        .offset:         0
        .size:           8
        .value_kind:     global_buffer
      - .actual_access:  read_only
        .address_space:  global
        .offset:         8
        .size:           8
        .value_kind:     global_buffer
      - .actual_access:  read_only
        .address_space:  global
        .offset:         16
        .size:           8
        .value_kind:     global_buffer
      - .actual_access:  read_only
        .address_space:  global
        .offset:         24
        .size:           8
        .value_kind:     global_buffer
      - .actual_access:  read_only
        .address_space:  global
        .offset:         32
        .size:           8
        .value_kind:     global_buffer
      - .actual_access:  read_only
        .address_space:  global
        .offset:         40
        .size:           8
        .value_kind:     global_buffer
      - .actual_access:  read_only
        .address_space:  global
        .offset:         48
        .size:           8
        .value_kind:     global_buffer
      - .actual_access:  read_only
        .address_space:  global
        .offset:         56
        .size:           8
        .value_kind:     global_buffer
      - .actual_access:  write_only
        .address_space:  global
        .offset:         64
        .size:           8
        .value_kind:     global_buffer
      - .offset:         72
        .size:           4
        .value_kind:     by_value
      - .offset:         76
        .size:           4
        .value_kind:     by_value
      - .offset:         80
        .size:           4
        .value_kind:     by_value
      - .offset:         84
        .size:           1
        .value_kind:     by_value
      - .offset:         85
        .size:           1
        .value_kind:     by_value
    .group_segment_fixed_size: 0
    .kernarg_segment_align: 8
    .kernarg_segment_size: 88
    .language:       OpenCL C
    .language_version:
      - 2
      - 0
    .max_flat_workgroup_size: 512
    .name:           _ZN9rocsparseL25csrgemm_nnz_block_per_rowILj512ELj16ELj4096ELj79EllEEvPKT4_S3_PKT3_S3_S6_S3_S6_S3_PS4_21rocsparse_index_base_S8_S8_bb
    .private_segment_fixed_size: 0
    .sgpr_count:     48
    .sgpr_spill_count: 0
    .symbol:         _ZN9rocsparseL25csrgemm_nnz_block_per_rowILj512ELj16ELj4096ELj79EllEEvPKT4_S3_PKT3_S3_S6_S3_S6_S3_PS4_21rocsparse_index_base_S8_S8_bb.kd
    .uniform_work_group_size: 1
    .uses_dynamic_stack: false
    .vgpr_count:     24
    .vgpr_spill_count: 0
    .wavefront_size: 64
  - .agpr_count:     0
    .args:
      - .actual_access:  read_only
        .address_space:  global
        .offset:         0
        .size:           8
        .value_kind:     global_buffer
      - .actual_access:  read_only
        .address_space:  global
        .offset:         8
        .size:           8
        .value_kind:     global_buffer
      - .actual_access:  read_only
        .address_space:  global
        .offset:         16
        .size:           8
        .value_kind:     global_buffer
      - .actual_access:  read_only
        .address_space:  global
        .offset:         24
        .size:           8
        .value_kind:     global_buffer
      - .actual_access:  read_only
        .address_space:  global
        .offset:         32
        .size:           8
        .value_kind:     global_buffer
      - .actual_access:  read_only
        .address_space:  global
        .offset:         40
        .size:           8
        .value_kind:     global_buffer
      - .actual_access:  read_only
        .address_space:  global
        .offset:         48
        .size:           8
        .value_kind:     global_buffer
      - .actual_access:  read_only
        .address_space:  global
        .offset:         56
        .size:           8
        .value_kind:     global_buffer
      - .actual_access:  write_only
        .address_space:  global
        .offset:         64
        .size:           8
        .value_kind:     global_buffer
      - .offset:         72
        .size:           4
        .value_kind:     by_value
      - .offset:         76
        .size:           4
        .value_kind:     by_value
      - .offset:         80
        .size:           4
        .value_kind:     by_value
      - .offset:         84
        .size:           1
        .value_kind:     by_value
      - .offset:         85
        .size:           1
        .value_kind:     by_value
    .group_segment_fixed_size: 0
    .kernarg_segment_align: 8
    .kernarg_segment_size: 88
    .language:       OpenCL C
    .language_version:
      - 2
      - 0
    .max_flat_workgroup_size: 1024
    .name:           _ZN9rocsparseL25csrgemm_nnz_block_per_rowILj1024ELj32ELj8192ELj79EllEEvPKT4_S3_PKT3_S3_S6_S3_S6_S3_PS4_21rocsparse_index_base_S8_S8_bb
    .private_segment_fixed_size: 0
    .sgpr_count:     48
    .sgpr_spill_count: 0
    .symbol:         _ZN9rocsparseL25csrgemm_nnz_block_per_rowILj1024ELj32ELj8192ELj79EllEEvPKT4_S3_PKT3_S3_S6_S3_S6_S3_PS4_21rocsparse_index_base_S8_S8_bb.kd
    .uniform_work_group_size: 1
    .uses_dynamic_stack: false
    .vgpr_count:     24
    .vgpr_spill_count: 0
    .wavefront_size: 64
  - .agpr_count:     0
    .args:
      - .actual_access:  read_only
        .address_space:  global
        .offset:         0
        .size:           8
        .value_kind:     global_buffer
      - .actual_access:  read_only
        .address_space:  global
        .offset:         8
        .size:           8
        .value_kind:     global_buffer
      - .actual_access:  read_only
        .address_space:  global
        .offset:         16
        .size:           8
        .value_kind:     global_buffer
      - .actual_access:  read_only
        .address_space:  global
        .offset:         24
        .size:           8
        .value_kind:     global_buffer
      - .actual_access:  read_only
        .address_space:  global
        .offset:         32
        .size:           8
        .value_kind:     global_buffer
      - .actual_access:  read_only
        .address_space:  global
        .offset:         40
        .size:           8
        .value_kind:     global_buffer
      - .actual_access:  read_only
        .address_space:  global
        .offset:         48
        .size:           8
        .value_kind:     global_buffer
      - .actual_access:  read_only
        .address_space:  global
        .offset:         56
        .size:           8
        .value_kind:     global_buffer
      - .actual_access:  write_only
        .address_space:  global
        .offset:         64
        .size:           8
        .value_kind:     global_buffer
      - .offset:         72
        .size:           4
        .value_kind:     by_value
      - .offset:         76
        .size:           4
        .value_kind:     by_value
      - .offset:         80
        .size:           4
        .value_kind:     by_value
      - .offset:         84
        .size:           1
        .value_kind:     by_value
      - .offset:         85
        .size:           1
        .value_kind:     by_value
    .group_segment_fixed_size: 0
    .kernarg_segment_align: 8
    .kernarg_segment_size: 88
    .language:       OpenCL C
    .language_version:
      - 2
      - 0
    .max_flat_workgroup_size: 1024
    .name:           _ZN9rocsparseL25csrgemm_nnz_block_per_rowILj1024ELj32ELj16384ELj79EllEEvPKT4_S3_PKT3_S3_S6_S3_S6_S3_PS4_21rocsparse_index_base_S8_S8_bb
    .private_segment_fixed_size: 0
    .sgpr_count:     54
    .sgpr_spill_count: 0
    .symbol:         _ZN9rocsparseL25csrgemm_nnz_block_per_rowILj1024ELj32ELj16384ELj79EllEEvPKT4_S3_PKT3_S3_S6_S3_S6_S3_PS4_21rocsparse_index_base_S8_S8_bb.kd
    .uniform_work_group_size: 1
    .uses_dynamic_stack: false
    .vgpr_count:     23
    .vgpr_spill_count: 0
    .wavefront_size: 64
  - .agpr_count:     0
    .args:
      - .actual_access:  read_only
        .address_space:  global
        .offset:         0
        .size:           8
        .value_kind:     global_buffer
      - .actual_access:  read_only
        .address_space:  global
        .offset:         8
        .size:           8
        .value_kind:     global_buffer
      - .actual_access:  read_only
        .address_space:  global
        .offset:         16
        .size:           8
        .value_kind:     global_buffer
      - .actual_access:  read_only
        .address_space:  global
        .offset:         24
        .size:           8
        .value_kind:     global_buffer
      - .actual_access:  read_only
        .address_space:  global
        .offset:         32
        .size:           8
        .value_kind:     global_buffer
      - .actual_access:  read_only
        .address_space:  global
        .offset:         40
        .size:           8
        .value_kind:     global_buffer
      - .actual_access:  read_only
        .address_space:  global
        .offset:         48
        .size:           8
        .value_kind:     global_buffer
      - .actual_access:  read_only
        .address_space:  global
        .offset:         56
        .size:           8
        .value_kind:     global_buffer
      - .actual_access:  write_only
        .address_space:  global
        .offset:         64
        .size:           8
        .value_kind:     global_buffer
      - .offset:         72
        .size:           4
        .value_kind:     by_value
      - .offset:         76
        .size:           4
        .value_kind:     by_value
      - .offset:         80
        .size:           4
        .value_kind:     by_value
      - .offset:         84
        .size:           1
        .value_kind:     by_value
      - .offset:         85
        .size:           1
        .value_kind:     by_value
    .group_segment_fixed_size: 0
    .kernarg_segment_align: 8
    .kernarg_segment_size: 88
    .language:       OpenCL C
    .language_version:
      - 2
      - 0
    .max_flat_workgroup_size: 1024
    .name:           _ZN9rocsparseL25csrgemm_nnz_block_per_rowILj1024ELj32ELj32768ELj79EllEEvPKT4_S3_PKT3_S3_S6_S3_S6_S3_PS4_21rocsparse_index_base_S8_S8_bb
    .private_segment_fixed_size: 0
    .sgpr_count:     54
    .sgpr_spill_count: 0
    .symbol:         _ZN9rocsparseL25csrgemm_nnz_block_per_rowILj1024ELj32ELj32768ELj79EllEEvPKT4_S3_PKT3_S3_S6_S3_S6_S3_PS4_21rocsparse_index_base_S8_S8_bb.kd
    .uniform_work_group_size: 1
    .uses_dynamic_stack: false
    .vgpr_count:     23
    .vgpr_spill_count: 0
    .wavefront_size: 64
  - .agpr_count:     0
    .args:
      - .actual_access:  read_only
        .address_space:  global
        .offset:         0
        .size:           8
        .value_kind:     global_buffer
      - .actual_access:  read_only
        .address_space:  global
        .offset:         8
        .size:           8
        .value_kind:     global_buffer
      - .actual_access:  read_only
        .address_space:  global
        .offset:         16
        .size:           8
        .value_kind:     global_buffer
      - .actual_access:  read_only
        .address_space:  global
        .offset:         24
        .size:           8
        .value_kind:     global_buffer
      - .actual_access:  read_only
        .address_space:  global
        .offset:         32
        .size:           8
        .value_kind:     global_buffer
      - .actual_access:  read_only
        .address_space:  global
        .offset:         40
        .size:           8
        .value_kind:     global_buffer
      - .actual_access:  read_only
        .address_space:  global
        .offset:         48
        .size:           8
        .value_kind:     global_buffer
      - .actual_access:  read_only
        .address_space:  global
        .offset:         56
        .size:           8
        .value_kind:     global_buffer
      - .actual_access:  write_only
        .address_space:  global
        .offset:         64
        .size:           8
        .value_kind:     global_buffer
      - .offset:         72
        .size:           4
        .value_kind:     by_value
      - .offset:         76
        .size:           4
        .value_kind:     by_value
      - .offset:         80
        .size:           4
        .value_kind:     by_value
      - .offset:         84
        .size:           1
        .value_kind:     by_value
      - .offset:         85
        .size:           1
        .value_kind:     by_value
    .group_segment_fixed_size: 0
    .kernarg_segment_align: 8
    .kernarg_segment_size: 88
    .language:       OpenCL C
    .language_version:
      - 2
      - 0
    .max_flat_workgroup_size: 1024
    .name:           _ZN9rocsparseL25csrgemm_nnz_block_per_rowILj1024ELj32ELj65536ELj79EllEEvPKT4_S3_PKT3_S3_S6_S3_S6_S3_PS4_21rocsparse_index_base_S8_S8_bb
    .private_segment_fixed_size: 0
    .sgpr_count:     54
    .sgpr_spill_count: 0
    .symbol:         _ZN9rocsparseL25csrgemm_nnz_block_per_rowILj1024ELj32ELj65536ELj79EllEEvPKT4_S3_PKT3_S3_S6_S3_S6_S3_PS4_21rocsparse_index_base_S8_S8_bb.kd
    .uniform_work_group_size: 1
    .uses_dynamic_stack: false
    .vgpr_count:     23
    .vgpr_spill_count: 0
    .wavefront_size: 64
  - .agpr_count:     0
    .args:
      - .offset:         0
        .size:           8
        .value_kind:     by_value
      - .actual_access:  read_only
        .address_space:  global
        .offset:         8
        .size:           8
        .value_kind:     global_buffer
      - .actual_access:  read_only
        .address_space:  global
        .offset:         16
        .size:           8
        .value_kind:     global_buffer
      - .actual_access:  read_only
        .address_space:  global
        .offset:         24
        .size:           8
        .value_kind:     global_buffer
      - .actual_access:  read_only
        .address_space:  global
        .offset:         32
        .size:           8
        .value_kind:     global_buffer
      - .actual_access:  read_only
        .address_space:  global
        .offset:         40
        .size:           8
        .value_kind:     global_buffer
      - .actual_access:  read_only
        .address_space:  global
        .offset:         48
        .size:           8
        .value_kind:     global_buffer
      - .actual_access:  read_only
        .address_space:  global
        .offset:         56
        .size:           8
        .value_kind:     global_buffer
      - .actual_access:  read_only
        .address_space:  global
        .offset:         64
        .size:           8
        .value_kind:     global_buffer
      - .actual_access:  write_only
        .address_space:  global
        .offset:         72
        .size:           8
        .value_kind:     global_buffer
      - .address_space:  global
        .offset:         80
        .size:           8
        .value_kind:     global_buffer
      - .offset:         88
        .size:           4
        .value_kind:     by_value
      - .offset:         92
        .size:           4
        .value_kind:     by_value
      - .offset:         96
        .size:           4
        .value_kind:     by_value
      - .offset:         100
        .size:           1
        .value_kind:     by_value
      - .offset:         101
        .size:           1
        .value_kind:     by_value
    .group_segment_fixed_size: 2064
    .kernarg_segment_align: 8
    .kernarg_segment_size: 104
    .language:       OpenCL C
    .language_version:
      - 2
      - 0
    .max_flat_workgroup_size: 512
    .name:           _ZN9rocsparseL35csrgemm_nnz_block_per_row_multipassILj512ELj16ELj2048EllEEvT3_PKS1_S3_PKT2_S3_S6_S3_S6_S3_PS4_S7_21rocsparse_index_base_S8_S8_bb
    .private_segment_fixed_size: 0
    .sgpr_count:     68
    .sgpr_spill_count: 0
    .symbol:         _ZN9rocsparseL35csrgemm_nnz_block_per_row_multipassILj512ELj16ELj2048EllEEvT3_PKS1_S3_PKT2_S3_S6_S3_S6_S3_PS4_S7_21rocsparse_index_base_S8_S8_bb.kd
    .uniform_work_group_size: 1
    .uses_dynamic_stack: false
    .vgpr_count:     32
    .vgpr_spill_count: 0
    .wavefront_size: 64
amdhsa.target:   amdgcn-amd-amdhsa--gfx90a
amdhsa.version:
  - 1
  - 2
...

	.end_amdgpu_metadata
